;; amdgpu-corpus repo=ROCm/rocSOLVER kind=compiled arch=gfx1250 opt=O3
	.amdgcn_target "amdgcn-amd-amdhsa--gfx1250"
	.amdhsa_code_object_version 6
	.section	.text._ZN9rocsolver6v33100L10reset_infoIiiiEEvPT_T0_T1_S4_,"axG",@progbits,_ZN9rocsolver6v33100L10reset_infoIiiiEEvPT_T0_T1_S4_,comdat
	.globl	_ZN9rocsolver6v33100L10reset_infoIiiiEEvPT_T0_T1_S4_ ; -- Begin function _ZN9rocsolver6v33100L10reset_infoIiiiEEvPT_T0_T1_S4_
	.p2align	8
	.type	_ZN9rocsolver6v33100L10reset_infoIiiiEEvPT_T0_T1_S4_,@function
_ZN9rocsolver6v33100L10reset_infoIiiiEEvPT_T0_T1_S4_: ; @_ZN9rocsolver6v33100L10reset_infoIiiiEEvPT_T0_T1_S4_
; %bb.0:
	s_clause 0x1
	s_load_b32 s2, s[0:1], 0x24
	s_load_b96 s[4:6], s[0:1], 0x8
	s_bfe_u32 s3, ttmp6, 0x4000c
	s_and_b32 s7, ttmp6, 15
	s_add_co_i32 s3, s3, 1
	s_getreg_b32 s8, hwreg(HW_REG_IB_STS2, 6, 4)
	s_mul_i32 s3, ttmp9, s3
	s_delay_alu instid0(SALU_CYCLE_1) | instskip(SKIP_4) | instid1(SALU_CYCLE_1)
	s_add_co_i32 s7, s7, s3
	s_wait_kmcnt 0x0
	s_and_b32 s2, s2, 0xffff
	s_cmp_eq_u32 s8, 0
	s_cselect_b32 s3, ttmp9, s7
	v_mad_u32 v0, s3, s2, v0
	s_mov_b32 s2, exec_lo
	s_delay_alu instid0(VALU_DEP_1)
	v_cmpx_gt_i32_e64 s4, v0
	s_cbranch_execz .LBB0_2
; %bb.1:
	s_load_b64 s[0:1], s[0:1], 0x0
	v_mad_u32 v1, v0, s6, s5
	s_wait_kmcnt 0x0
	global_store_b32 v0, v1, s[0:1] scale_offset
.LBB0_2:
	s_endpgm
	.section	.rodata,"a",@progbits
	.p2align	6, 0x0
	.amdhsa_kernel _ZN9rocsolver6v33100L10reset_infoIiiiEEvPT_T0_T1_S4_
		.amdhsa_group_segment_fixed_size 0
		.amdhsa_private_segment_fixed_size 0
		.amdhsa_kernarg_size 280
		.amdhsa_user_sgpr_count 2
		.amdhsa_user_sgpr_dispatch_ptr 0
		.amdhsa_user_sgpr_queue_ptr 0
		.amdhsa_user_sgpr_kernarg_segment_ptr 1
		.amdhsa_user_sgpr_dispatch_id 0
		.amdhsa_user_sgpr_kernarg_preload_length 0
		.amdhsa_user_sgpr_kernarg_preload_offset 0
		.amdhsa_user_sgpr_private_segment_size 0
		.amdhsa_wavefront_size32 1
		.amdhsa_uses_dynamic_stack 0
		.amdhsa_enable_private_segment 0
		.amdhsa_system_sgpr_workgroup_id_x 1
		.amdhsa_system_sgpr_workgroup_id_y 0
		.amdhsa_system_sgpr_workgroup_id_z 0
		.amdhsa_system_sgpr_workgroup_info 0
		.amdhsa_system_vgpr_workitem_id 0
		.amdhsa_next_free_vgpr 2
		.amdhsa_next_free_sgpr 9
		.amdhsa_named_barrier_count 0
		.amdhsa_reserve_vcc 0
		.amdhsa_float_round_mode_32 0
		.amdhsa_float_round_mode_16_64 0
		.amdhsa_float_denorm_mode_32 3
		.amdhsa_float_denorm_mode_16_64 3
		.amdhsa_fp16_overflow 0
		.amdhsa_memory_ordered 1
		.amdhsa_forward_progress 1
		.amdhsa_inst_pref_size 2
		.amdhsa_round_robin_scheduling 0
		.amdhsa_exception_fp_ieee_invalid_op 0
		.amdhsa_exception_fp_denorm_src 0
		.amdhsa_exception_fp_ieee_div_zero 0
		.amdhsa_exception_fp_ieee_overflow 0
		.amdhsa_exception_fp_ieee_underflow 0
		.amdhsa_exception_fp_ieee_inexact 0
		.amdhsa_exception_int_div_zero 0
	.end_amdhsa_kernel
	.section	.text._ZN9rocsolver6v33100L10reset_infoIiiiEEvPT_T0_T1_S4_,"axG",@progbits,_ZN9rocsolver6v33100L10reset_infoIiiiEEvPT_T0_T1_S4_,comdat
.Lfunc_end0:
	.size	_ZN9rocsolver6v33100L10reset_infoIiiiEEvPT_T0_T1_S4_, .Lfunc_end0-_ZN9rocsolver6v33100L10reset_infoIiiiEEvPT_T0_T1_S4_
                                        ; -- End function
	.set _ZN9rocsolver6v33100L10reset_infoIiiiEEvPT_T0_T1_S4_.num_vgpr, 2
	.set _ZN9rocsolver6v33100L10reset_infoIiiiEEvPT_T0_T1_S4_.num_agpr, 0
	.set _ZN9rocsolver6v33100L10reset_infoIiiiEEvPT_T0_T1_S4_.numbered_sgpr, 9
	.set _ZN9rocsolver6v33100L10reset_infoIiiiEEvPT_T0_T1_S4_.num_named_barrier, 0
	.set _ZN9rocsolver6v33100L10reset_infoIiiiEEvPT_T0_T1_S4_.private_seg_size, 0
	.set _ZN9rocsolver6v33100L10reset_infoIiiiEEvPT_T0_T1_S4_.uses_vcc, 0
	.set _ZN9rocsolver6v33100L10reset_infoIiiiEEvPT_T0_T1_S4_.uses_flat_scratch, 0
	.set _ZN9rocsolver6v33100L10reset_infoIiiiEEvPT_T0_T1_S4_.has_dyn_sized_stack, 0
	.set _ZN9rocsolver6v33100L10reset_infoIiiiEEvPT_T0_T1_S4_.has_recursion, 0
	.set _ZN9rocsolver6v33100L10reset_infoIiiiEEvPT_T0_T1_S4_.has_indirect_call, 0
	.section	.AMDGPU.csdata,"",@progbits
; Kernel info:
; codeLenInByte = 136
; TotalNumSgprs: 9
; NumVgprs: 2
; ScratchSize: 0
; MemoryBound: 0
; FloatMode: 240
; IeeeMode: 1
; LDSByteSize: 0 bytes/workgroup (compile time only)
; SGPRBlocks: 0
; VGPRBlocks: 0
; NumSGPRsForWavesPerEU: 9
; NumVGPRsForWavesPerEU: 2
; NamedBarCnt: 0
; Occupancy: 16
; WaveLimiterHint : 0
; COMPUTE_PGM_RSRC2:SCRATCH_EN: 0
; COMPUTE_PGM_RSRC2:USER_SGPR: 2
; COMPUTE_PGM_RSRC2:TRAP_HANDLER: 0
; COMPUTE_PGM_RSRC2:TGID_X_EN: 1
; COMPUTE_PGM_RSRC2:TGID_Y_EN: 0
; COMPUTE_PGM_RSRC2:TGID_Z_EN: 0
; COMPUTE_PGM_RSRC2:TIDIG_COMP_CNT: 0
	.section	.text._ZN9rocsolver6v33100L10reset_infoIfiiEEvPT_T0_T1_S4_,"axG",@progbits,_ZN9rocsolver6v33100L10reset_infoIfiiEEvPT_T0_T1_S4_,comdat
	.globl	_ZN9rocsolver6v33100L10reset_infoIfiiEEvPT_T0_T1_S4_ ; -- Begin function _ZN9rocsolver6v33100L10reset_infoIfiiEEvPT_T0_T1_S4_
	.p2align	8
	.type	_ZN9rocsolver6v33100L10reset_infoIfiiEEvPT_T0_T1_S4_,@function
_ZN9rocsolver6v33100L10reset_infoIfiiEEvPT_T0_T1_S4_: ; @_ZN9rocsolver6v33100L10reset_infoIfiiEEvPT_T0_T1_S4_
; %bb.0:
	s_clause 0x1
	s_load_b32 s2, s[0:1], 0x24
	s_load_b96 s[4:6], s[0:1], 0x8
	s_bfe_u32 s3, ttmp6, 0x4000c
	s_and_b32 s7, ttmp6, 15
	s_add_co_i32 s3, s3, 1
	s_getreg_b32 s8, hwreg(HW_REG_IB_STS2, 6, 4)
	s_mul_i32 s3, ttmp9, s3
	s_delay_alu instid0(SALU_CYCLE_1) | instskip(SKIP_4) | instid1(SALU_CYCLE_1)
	s_add_co_i32 s7, s7, s3
	s_wait_kmcnt 0x0
	s_and_b32 s2, s2, 0xffff
	s_cmp_eq_u32 s8, 0
	s_cselect_b32 s3, ttmp9, s7
	v_mad_u32 v0, s3, s2, v0
	s_mov_b32 s2, exec_lo
	s_delay_alu instid0(VALU_DEP_1)
	v_cmpx_gt_i32_e64 s4, v0
	s_cbranch_execz .LBB1_2
; %bb.1:
	v_mul_lo_u32 v1, v0, s6
	s_load_b64 s[0:1], s[0:1], 0x0
	s_cvt_f32_i32 s2, s5
	s_delay_alu instid0(VALU_DEP_1)
	v_cvt_f32_i32_e32 v1, v1
	s_delay_alu instid0(VALU_DEP_1) | instid1(SALU_CYCLE_2)
	v_add_f32_e32 v1, s2, v1
	s_wait_kmcnt 0x0
	global_store_b32 v0, v1, s[0:1] scale_offset
.LBB1_2:
	s_endpgm
	.section	.rodata,"a",@progbits
	.p2align	6, 0x0
	.amdhsa_kernel _ZN9rocsolver6v33100L10reset_infoIfiiEEvPT_T0_T1_S4_
		.amdhsa_group_segment_fixed_size 0
		.amdhsa_private_segment_fixed_size 0
		.amdhsa_kernarg_size 280
		.amdhsa_user_sgpr_count 2
		.amdhsa_user_sgpr_dispatch_ptr 0
		.amdhsa_user_sgpr_queue_ptr 0
		.amdhsa_user_sgpr_kernarg_segment_ptr 1
		.amdhsa_user_sgpr_dispatch_id 0
		.amdhsa_user_sgpr_kernarg_preload_length 0
		.amdhsa_user_sgpr_kernarg_preload_offset 0
		.amdhsa_user_sgpr_private_segment_size 0
		.amdhsa_wavefront_size32 1
		.amdhsa_uses_dynamic_stack 0
		.amdhsa_enable_private_segment 0
		.amdhsa_system_sgpr_workgroup_id_x 1
		.amdhsa_system_sgpr_workgroup_id_y 0
		.amdhsa_system_sgpr_workgroup_id_z 0
		.amdhsa_system_sgpr_workgroup_info 0
		.amdhsa_system_vgpr_workitem_id 0
		.amdhsa_next_free_vgpr 2
		.amdhsa_next_free_sgpr 9
		.amdhsa_named_barrier_count 0
		.amdhsa_reserve_vcc 0
		.amdhsa_float_round_mode_32 0
		.amdhsa_float_round_mode_16_64 0
		.amdhsa_float_denorm_mode_32 3
		.amdhsa_float_denorm_mode_16_64 3
		.amdhsa_fp16_overflow 0
		.amdhsa_memory_ordered 1
		.amdhsa_forward_progress 1
		.amdhsa_inst_pref_size 2
		.amdhsa_round_robin_scheduling 0
		.amdhsa_exception_fp_ieee_invalid_op 0
		.amdhsa_exception_fp_denorm_src 0
		.amdhsa_exception_fp_ieee_div_zero 0
		.amdhsa_exception_fp_ieee_overflow 0
		.amdhsa_exception_fp_ieee_underflow 0
		.amdhsa_exception_fp_ieee_inexact 0
		.amdhsa_exception_int_div_zero 0
	.end_amdhsa_kernel
	.section	.text._ZN9rocsolver6v33100L10reset_infoIfiiEEvPT_T0_T1_S4_,"axG",@progbits,_ZN9rocsolver6v33100L10reset_infoIfiiEEvPT_T0_T1_S4_,comdat
.Lfunc_end1:
	.size	_ZN9rocsolver6v33100L10reset_infoIfiiEEvPT_T0_T1_S4_, .Lfunc_end1-_ZN9rocsolver6v33100L10reset_infoIfiiEEvPT_T0_T1_S4_
                                        ; -- End function
	.set _ZN9rocsolver6v33100L10reset_infoIfiiEEvPT_T0_T1_S4_.num_vgpr, 2
	.set _ZN9rocsolver6v33100L10reset_infoIfiiEEvPT_T0_T1_S4_.num_agpr, 0
	.set _ZN9rocsolver6v33100L10reset_infoIfiiEEvPT_T0_T1_S4_.numbered_sgpr, 9
	.set _ZN9rocsolver6v33100L10reset_infoIfiiEEvPT_T0_T1_S4_.num_named_barrier, 0
	.set _ZN9rocsolver6v33100L10reset_infoIfiiEEvPT_T0_T1_S4_.private_seg_size, 0
	.set _ZN9rocsolver6v33100L10reset_infoIfiiEEvPT_T0_T1_S4_.uses_vcc, 0
	.set _ZN9rocsolver6v33100L10reset_infoIfiiEEvPT_T0_T1_S4_.uses_flat_scratch, 0
	.set _ZN9rocsolver6v33100L10reset_infoIfiiEEvPT_T0_T1_S4_.has_dyn_sized_stack, 0
	.set _ZN9rocsolver6v33100L10reset_infoIfiiEEvPT_T0_T1_S4_.has_recursion, 0
	.set _ZN9rocsolver6v33100L10reset_infoIfiiEEvPT_T0_T1_S4_.has_indirect_call, 0
	.section	.AMDGPU.csdata,"",@progbits
; Kernel info:
; codeLenInByte = 156
; TotalNumSgprs: 9
; NumVgprs: 2
; ScratchSize: 0
; MemoryBound: 0
; FloatMode: 240
; IeeeMode: 1
; LDSByteSize: 0 bytes/workgroup (compile time only)
; SGPRBlocks: 0
; VGPRBlocks: 0
; NumSGPRsForWavesPerEU: 9
; NumVGPRsForWavesPerEU: 2
; NamedBarCnt: 0
; Occupancy: 16
; WaveLimiterHint : 0
; COMPUTE_PGM_RSRC2:SCRATCH_EN: 0
; COMPUTE_PGM_RSRC2:USER_SGPR: 2
; COMPUTE_PGM_RSRC2:TRAP_HANDLER: 0
; COMPUTE_PGM_RSRC2:TGID_X_EN: 1
; COMPUTE_PGM_RSRC2:TGID_Y_EN: 0
; COMPUTE_PGM_RSRC2:TGID_Z_EN: 0
; COMPUTE_PGM_RSRC2:TIDIG_COMP_CNT: 0
	.section	.text._ZN9rocsolver6v33100L8copy_matIfPfS2_NS0_7no_maskEEEviiT0_iilT1_iilT2_13rocblas_fill_17rocblas_diagonal_,"axG",@progbits,_ZN9rocsolver6v33100L8copy_matIfPfS2_NS0_7no_maskEEEviiT0_iilT1_iilT2_13rocblas_fill_17rocblas_diagonal_,comdat
	.globl	_ZN9rocsolver6v33100L8copy_matIfPfS2_NS0_7no_maskEEEviiT0_iilT1_iilT2_13rocblas_fill_17rocblas_diagonal_ ; -- Begin function _ZN9rocsolver6v33100L8copy_matIfPfS2_NS0_7no_maskEEEviiT0_iilT1_iilT2_13rocblas_fill_17rocblas_diagonal_
	.p2align	8
	.type	_ZN9rocsolver6v33100L8copy_matIfPfS2_NS0_7no_maskEEEviiT0_iilT1_iilT2_13rocblas_fill_17rocblas_diagonal_,@function
_ZN9rocsolver6v33100L8copy_matIfPfS2_NS0_7no_maskEEEviiT0_iilT1_iilT2_13rocblas_fill_17rocblas_diagonal_: ; @_ZN9rocsolver6v33100L8copy_matIfPfS2_NS0_7no_maskEEEviiT0_iilT1_iilT2_13rocblas_fill_17rocblas_diagonal_
; %bb.0:
	s_clause 0x1
	s_load_b32 s2, s[0:1], 0x54
	s_load_b64 s[4:5], s[0:1], 0x0
	s_bfe_u32 s7, ttmp6, 0x4000c
	s_bfe_u32 s9, ttmp6, 0x40010
	s_and_b32 s8, ttmp7, 0xffff
	s_add_co_i32 s7, s7, 1
	s_add_co_i32 s9, s9, 1
	s_and_b32 s6, ttmp6, 15
	s_bfe_u32 s10, ttmp6, 0x40004
	s_mul_i32 s7, ttmp9, s7
	s_mul_i32 s9, s8, s9
	s_getreg_b32 s3, hwreg(HW_REG_IB_STS2, 6, 4)
	v_bfe_u32 v1, v0, 10, 10
	v_and_b32_e32 v0, 0x3ff, v0
	s_add_co_i32 s6, s6, s7
	s_add_co_i32 s10, s10, s9
	s_wait_kmcnt 0x0
	s_lshr_b32 s7, s2, 16
	s_and_b32 s2, s2, 0xffff
	s_cmp_eq_u32 s3, 0
	s_cselect_b32 s6, ttmp9, s6
	s_cselect_b32 s8, s8, s10
	v_mad_u32 v0, s6, s2, v0
	v_mad_u32 v1, s8, s7, v1
	s_delay_alu instid0(VALU_DEP_2) | instskip(NEXT) | instid1(VALU_DEP_2)
	v_cmp_gt_u32_e32 vcc_lo, s4, v0
	v_cmp_gt_u32_e64 s2, s5, v1
	s_and_b32 s2, s2, vcc_lo
	s_delay_alu instid0(SALU_CYCLE_1)
	s_and_saveexec_b32 s4, s2
	s_cbranch_execz .LBB2_14
; %bb.1:
	s_load_b64 s[4:5], s[0:1], 0x3c
	s_wait_kmcnt 0x0
	s_cmp_lt_i32 s4, 0x7a
	s_cbranch_scc1 .LBB2_4
; %bb.2:
	s_cmp_gt_i32 s4, 0x7a
	s_cbranch_scc0 .LBB2_5
; %bb.3:
	s_cmp_lg_u32 s4, 0x7b
	s_mov_b32 s6, -1
	s_cselect_b32 s7, -1, 0
	s_cbranch_execz .LBB2_6
	s_branch .LBB2_7
.LBB2_4:
	s_mov_b32 s7, 0
	s_mov_b32 s6, 0
	s_cbranch_execnz .LBB2_8
	s_branch .LBB2_10
.LBB2_5:
	s_mov_b32 s6, 0
	s_mov_b32 s7, 0
.LBB2_6:
	v_cmp_gt_u32_e32 vcc_lo, v0, v1
	v_cmp_le_u32_e64 s2, v0, v1
	s_and_not1_b32 s6, s6, exec_lo
	s_and_not1_b32 s7, s7, exec_lo
	s_and_b32 s8, vcc_lo, exec_lo
	s_and_b32 s2, s2, exec_lo
	s_or_b32 s6, s6, s8
	s_or_b32 s7, s7, s2
.LBB2_7:
	s_branch .LBB2_10
.LBB2_8:
	s_cmp_eq_u32 s4, 0x79
	s_mov_b32 s7, -1
	s_cbranch_scc0 .LBB2_10
; %bb.9:
	v_cmp_gt_u32_e32 vcc_lo, v1, v0
	v_cmp_le_u32_e64 s2, v1, v0
	s_and_not1_b32 s4, s6, exec_lo
	s_and_b32 s6, vcc_lo, exec_lo
	s_or_not1_b32 s7, s2, exec_lo
	s_or_b32 s6, s4, s6
.LBB2_10:
	s_and_saveexec_b32 s2, s7
; %bb.11:
	v_cmp_eq_u32_e32 vcc_lo, v0, v1
	s_cmp_eq_u32 s5, 0x83
	s_cselect_b32 s4, -1, 0
	s_and_not1_b32 s5, s6, exec_lo
	s_and_b32 s4, s4, vcc_lo
	s_delay_alu instid0(SALU_CYCLE_1) | instskip(NEXT) | instid1(SALU_CYCLE_1)
	s_and_b32 s4, s4, exec_lo
	s_or_b32 s6, s5, s4
; %bb.12:
	s_or_b32 exec_lo, exec_lo, s2
	s_delay_alu instid0(SALU_CYCLE_1)
	s_and_b32 exec_lo, exec_lo, s6
	s_cbranch_execz .LBB2_14
; %bb.13:
	s_load_b256 s[4:11], s[0:1], 0x8
	s_bfe_u32 s2, ttmp6, 0x40014
	s_lshr_b32 s12, ttmp7, 16
	s_add_co_i32 s2, s2, 1
	s_bfe_u32 s14, ttmp6, 0x40008
	s_mul_i32 s2, s12, s2
	s_mov_b32 s13, 0
	s_add_co_i32 s14, s14, s2
	s_wait_kmcnt 0x0
	s_ashr_i32 s15, s6, 31
	s_cmp_eq_u32 s3, 0
	v_mad_u32 v2, v1, s7, v0
	s_cselect_b32 s12, s12, s14
	s_mov_b32 s14, s6
	s_mul_u64 s[2:3], s[8:9], s[12:13]
	s_delay_alu instid0(SALU_CYCLE_1) | instskip(NEXT) | instid1(SALU_CYCLE_1)
	s_lshl_b64 s[2:3], s[2:3], 2
	s_add_nc_u64 s[2:3], s[4:5], s[2:3]
	s_lshl_b64 s[4:5], s[14:15], 2
	s_delay_alu instid0(SALU_CYCLE_1)
	s_add_nc_u64 s[2:3], s[2:3], s[4:5]
	s_load_b128 s[4:7], s[0:1], 0x28
	global_load_b32 v2, v2, s[2:3] scale_offset
	s_wait_kmcnt 0x0
	v_mad_u32 v0, v1, s5, v0
	s_mul_u64 s[0:1], s[6:7], s[12:13]
	s_wait_xcnt 0x0
	s_ashr_i32 s3, s4, 31
	s_lshl_b64 s[0:1], s[0:1], 2
	s_mov_b32 s2, s4
	s_add_nc_u64 s[0:1], s[10:11], s[0:1]
	s_lshl_b64 s[2:3], s[2:3], 2
	s_delay_alu instid0(SALU_CYCLE_1)
	s_add_nc_u64 s[0:1], s[0:1], s[2:3]
	s_wait_loadcnt 0x0
	global_store_b32 v0, v2, s[0:1] scale_offset
.LBB2_14:
	s_endpgm
	.section	.rodata,"a",@progbits
	.p2align	6, 0x0
	.amdhsa_kernel _ZN9rocsolver6v33100L8copy_matIfPfS2_NS0_7no_maskEEEviiT0_iilT1_iilT2_13rocblas_fill_17rocblas_diagonal_
		.amdhsa_group_segment_fixed_size 0
		.amdhsa_private_segment_fixed_size 0
		.amdhsa_kernarg_size 328
		.amdhsa_user_sgpr_count 2
		.amdhsa_user_sgpr_dispatch_ptr 0
		.amdhsa_user_sgpr_queue_ptr 0
		.amdhsa_user_sgpr_kernarg_segment_ptr 1
		.amdhsa_user_sgpr_dispatch_id 0
		.amdhsa_user_sgpr_kernarg_preload_length 0
		.amdhsa_user_sgpr_kernarg_preload_offset 0
		.amdhsa_user_sgpr_private_segment_size 0
		.amdhsa_wavefront_size32 1
		.amdhsa_uses_dynamic_stack 0
		.amdhsa_enable_private_segment 0
		.amdhsa_system_sgpr_workgroup_id_x 1
		.amdhsa_system_sgpr_workgroup_id_y 1
		.amdhsa_system_sgpr_workgroup_id_z 1
		.amdhsa_system_sgpr_workgroup_info 0
		.amdhsa_system_vgpr_workitem_id 1
		.amdhsa_next_free_vgpr 3
		.amdhsa_next_free_sgpr 16
		.amdhsa_named_barrier_count 0
		.amdhsa_reserve_vcc 1
		.amdhsa_float_round_mode_32 0
		.amdhsa_float_round_mode_16_64 0
		.amdhsa_float_denorm_mode_32 3
		.amdhsa_float_denorm_mode_16_64 3
		.amdhsa_fp16_overflow 0
		.amdhsa_memory_ordered 1
		.amdhsa_forward_progress 1
		.amdhsa_inst_pref_size 5
		.amdhsa_round_robin_scheduling 0
		.amdhsa_exception_fp_ieee_invalid_op 0
		.amdhsa_exception_fp_denorm_src 0
		.amdhsa_exception_fp_ieee_div_zero 0
		.amdhsa_exception_fp_ieee_overflow 0
		.amdhsa_exception_fp_ieee_underflow 0
		.amdhsa_exception_fp_ieee_inexact 0
		.amdhsa_exception_int_div_zero 0
	.end_amdhsa_kernel
	.section	.text._ZN9rocsolver6v33100L8copy_matIfPfS2_NS0_7no_maskEEEviiT0_iilT1_iilT2_13rocblas_fill_17rocblas_diagonal_,"axG",@progbits,_ZN9rocsolver6v33100L8copy_matIfPfS2_NS0_7no_maskEEEviiT0_iilT1_iilT2_13rocblas_fill_17rocblas_diagonal_,comdat
.Lfunc_end2:
	.size	_ZN9rocsolver6v33100L8copy_matIfPfS2_NS0_7no_maskEEEviiT0_iilT1_iilT2_13rocblas_fill_17rocblas_diagonal_, .Lfunc_end2-_ZN9rocsolver6v33100L8copy_matIfPfS2_NS0_7no_maskEEEviiT0_iilT1_iilT2_13rocblas_fill_17rocblas_diagonal_
                                        ; -- End function
	.set _ZN9rocsolver6v33100L8copy_matIfPfS2_NS0_7no_maskEEEviiT0_iilT1_iilT2_13rocblas_fill_17rocblas_diagonal_.num_vgpr, 3
	.set _ZN9rocsolver6v33100L8copy_matIfPfS2_NS0_7no_maskEEEviiT0_iilT1_iilT2_13rocblas_fill_17rocblas_diagonal_.num_agpr, 0
	.set _ZN9rocsolver6v33100L8copy_matIfPfS2_NS0_7no_maskEEEviiT0_iilT1_iilT2_13rocblas_fill_17rocblas_diagonal_.numbered_sgpr, 16
	.set _ZN9rocsolver6v33100L8copy_matIfPfS2_NS0_7no_maskEEEviiT0_iilT1_iilT2_13rocblas_fill_17rocblas_diagonal_.num_named_barrier, 0
	.set _ZN9rocsolver6v33100L8copy_matIfPfS2_NS0_7no_maskEEEviiT0_iilT1_iilT2_13rocblas_fill_17rocblas_diagonal_.private_seg_size, 0
	.set _ZN9rocsolver6v33100L8copy_matIfPfS2_NS0_7no_maskEEEviiT0_iilT1_iilT2_13rocblas_fill_17rocblas_diagonal_.uses_vcc, 1
	.set _ZN9rocsolver6v33100L8copy_matIfPfS2_NS0_7no_maskEEEviiT0_iilT1_iilT2_13rocblas_fill_17rocblas_diagonal_.uses_flat_scratch, 0
	.set _ZN9rocsolver6v33100L8copy_matIfPfS2_NS0_7no_maskEEEviiT0_iilT1_iilT2_13rocblas_fill_17rocblas_diagonal_.has_dyn_sized_stack, 0
	.set _ZN9rocsolver6v33100L8copy_matIfPfS2_NS0_7no_maskEEEviiT0_iilT1_iilT2_13rocblas_fill_17rocblas_diagonal_.has_recursion, 0
	.set _ZN9rocsolver6v33100L8copy_matIfPfS2_NS0_7no_maskEEEviiT0_iilT1_iilT2_13rocblas_fill_17rocblas_diagonal_.has_indirect_call, 0
	.section	.AMDGPU.csdata,"",@progbits
; Kernel info:
; codeLenInByte = 588
; TotalNumSgprs: 18
; NumVgprs: 3
; ScratchSize: 0
; MemoryBound: 0
; FloatMode: 240
; IeeeMode: 1
; LDSByteSize: 0 bytes/workgroup (compile time only)
; SGPRBlocks: 0
; VGPRBlocks: 0
; NumSGPRsForWavesPerEU: 18
; NumVGPRsForWavesPerEU: 3
; NamedBarCnt: 0
; Occupancy: 16
; WaveLimiterHint : 0
; COMPUTE_PGM_RSRC2:SCRATCH_EN: 0
; COMPUTE_PGM_RSRC2:USER_SGPR: 2
; COMPUTE_PGM_RSRC2:TRAP_HANDLER: 0
; COMPUTE_PGM_RSRC2:TGID_X_EN: 1
; COMPUTE_PGM_RSRC2:TGID_Y_EN: 1
; COMPUTE_PGM_RSRC2:TGID_Z_EN: 1
; COMPUTE_PGM_RSRC2:TIDIG_COMP_CNT: 1
	.section	.text._ZN9rocsolver6v33100L18stebz_case1_kernelIfPfEEv15rocblas_erange_T_S4_T0_ilPiS6_PS4_lS6_lS6_li,"axG",@progbits,_ZN9rocsolver6v33100L18stebz_case1_kernelIfPfEEv15rocblas_erange_T_S4_T0_ilPiS6_PS4_lS6_lS6_li,comdat
	.globl	_ZN9rocsolver6v33100L18stebz_case1_kernelIfPfEEv15rocblas_erange_T_S4_T0_ilPiS6_PS4_lS6_lS6_li ; -- Begin function _ZN9rocsolver6v33100L18stebz_case1_kernelIfPfEEv15rocblas_erange_T_S4_T0_ilPiS6_PS4_lS6_lS6_li
	.p2align	8
	.type	_ZN9rocsolver6v33100L18stebz_case1_kernelIfPfEEv15rocblas_erange_T_S4_T0_ilPiS6_PS4_lS6_lS6_li,@function
_ZN9rocsolver6v33100L18stebz_case1_kernelIfPfEEv15rocblas_erange_T_S4_T0_ilPiS6_PS4_lS6_lS6_li: ; @_ZN9rocsolver6v33100L18stebz_case1_kernelIfPfEEv15rocblas_erange_T_S4_T0_ilPiS6_PS4_lS6_lS6_li
; %bb.0:
	s_clause 0x1
	s_load_b32 s2, s[0:1], 0x7c
	s_load_b32 s3, s[0:1], 0x68
	s_bfe_u32 s4, ttmp6, 0x4000c
	s_and_b32 s5, ttmp6, 15
	s_add_co_i32 s4, s4, 1
	s_getreg_b32 s6, hwreg(HW_REG_IB_STS2, 6, 4)
	s_mul_i32 s4, ttmp9, s4
	s_delay_alu instid0(SALU_CYCLE_1) | instskip(SKIP_4) | instid1(SALU_CYCLE_1)
	s_add_co_i32 s5, s5, s4
	s_wait_kmcnt 0x0
	s_and_b32 s2, s2, 0xffff
	s_cmp_eq_u32 s6, 0
	s_cselect_b32 s4, ttmp9, s5
	v_mad_u32 v0, s4, s2, v0
	s_delay_alu instid0(VALU_DEP_1)
	v_cmp_gt_i32_e32 vcc_lo, s3, v0
	s_mov_b32 s3, 0
	s_and_saveexec_b32 s2, vcc_lo
	s_cbranch_execz .LBB3_5
; %bb.1:
	s_load_b512 s[4:19], s[0:1], 0x20
	v_dual_ashrrev_i32 v1, 31, v0 :: v_dual_mov_b32 v5, 1
	s_load_b96 s[20:22], s[0:1], 0x10
	s_wait_kmcnt 0x0
	s_delay_alu instid0(VALU_DEP_1) | instskip(SKIP_4) | instid1(VALU_DEP_1)
	v_mul_u64_e32 v[2:3], s[4:5], v[0:1]
	global_store_b32 v0, v5, s[8:9] scale_offset
	s_ashr_i32 s5, s22, 31
	s_mov_b32 s4, s22
	v_lshl_add_u64 v[2:3], v[2:3], 2, s[20:21]
	v_lshl_add_u64 v[2:3], s[4:5], 2, v[2:3]
	s_load_b64 s[4:5], s[0:1], 0x60
	global_load_b32 v4, v[2:3], off
	s_load_b96 s[0:2], s[0:1], 0x0
	s_wait_kmcnt 0x0
	v_mul_u64_e32 v[2:3], s[4:5], v[0:1]
	s_cmp_lg_u32 s0, 0xe8
	s_cselect_b32 s4, -1, 0
	s_delay_alu instid0(SALU_CYCLE_1) | instskip(NEXT) | instid1(VALU_DEP_1)
	s_and_b32 vcc_lo, exec_lo, s4
	v_lshl_add_u64 v[2:3], v[2:3], 2, s[18:19]
	global_store_b32 v[2:3], v5, off
	s_cbranch_vccz .LBB3_6
; %bb.2:
	s_wait_xcnt 0x0
	v_lshl_add_u64 v[2:3], v[0:1], 2, s[6:7]
	s_and_saveexec_b32 s0, s4
	s_delay_alu instid0(SALU_CYCLE_1)
	s_xor_b32 s0, exec_lo, s0
	s_cbranch_execnz .LBB3_7
.LBB3_3:
	s_or_b32 exec_lo, exec_lo, s0
	s_delay_alu instid0(SALU_CYCLE_1)
	s_and_b32 exec_lo, exec_lo, s3
	s_cbranch_execz .LBB3_5
.LBB3_4:
	v_mov_b32_e32 v0, 0
	global_store_b32 v[2:3], v0, off
.LBB3_5:
	s_endpgm
.LBB3_6:
	s_wait_loadcnt 0x0
	v_cmp_nge_f32_e32 vcc_lo, s1, v4
	v_cmp_nlt_f32_e64 s0, s2, v4
	s_and_not1_b32 s1, s4, exec_lo
	s_mov_b32 s3, -1
	s_and_b32 s0, vcc_lo, s0
	s_delay_alu instid0(SALU_CYCLE_1) | instskip(NEXT) | instid1(SALU_CYCLE_1)
	s_and_b32 s0, s0, exec_lo
	s_or_b32 s4, s1, s0
	s_wait_xcnt 0x0
	v_lshl_add_u64 v[2:3], v[0:1], 2, s[6:7]
	s_and_saveexec_b32 s0, s4
	s_delay_alu instid0(SALU_CYCLE_1)
	s_xor_b32 s0, exec_lo, s0
	s_cbranch_execz .LBB3_3
.LBB3_7:
	v_mul_u64_e32 v[6:7], s[12:13], v[0:1]
	v_mul_u64_e32 v[0:1], s[16:17], v[0:1]
	v_mov_b32_e32 v5, 1
	s_and_not1_b32 s3, s3, exec_lo
	s_delay_alu instid0(VALU_DEP_3) | instskip(NEXT) | instid1(VALU_DEP_3)
	v_lshl_add_u64 v[6:7], v[6:7], 2, s[10:11]
	v_lshl_add_u64 v[0:1], v[0:1], 2, s[14:15]
	global_store_b32 v[2:3], v5, off
	s_wait_loadcnt 0x0
	global_store_b32 v[6:7], v4, off
	global_store_b32 v[0:1], v5, off
	s_wait_xcnt 0x0
	s_or_b32 exec_lo, exec_lo, s0
	s_delay_alu instid0(SALU_CYCLE_1)
	s_and_b32 exec_lo, exec_lo, s3
	s_cbranch_execnz .LBB3_4
	s_branch .LBB3_5
	.section	.rodata,"a",@progbits
	.p2align	6, 0x0
	.amdhsa_kernel _ZN9rocsolver6v33100L18stebz_case1_kernelIfPfEEv15rocblas_erange_T_S4_T0_ilPiS6_PS4_lS6_lS6_li
		.amdhsa_group_segment_fixed_size 0
		.amdhsa_private_segment_fixed_size 0
		.amdhsa_kernarg_size 368
		.amdhsa_user_sgpr_count 2
		.amdhsa_user_sgpr_dispatch_ptr 0
		.amdhsa_user_sgpr_queue_ptr 0
		.amdhsa_user_sgpr_kernarg_segment_ptr 1
		.amdhsa_user_sgpr_dispatch_id 0
		.amdhsa_user_sgpr_kernarg_preload_length 0
		.amdhsa_user_sgpr_kernarg_preload_offset 0
		.amdhsa_user_sgpr_private_segment_size 0
		.amdhsa_wavefront_size32 1
		.amdhsa_uses_dynamic_stack 0
		.amdhsa_enable_private_segment 0
		.amdhsa_system_sgpr_workgroup_id_x 1
		.amdhsa_system_sgpr_workgroup_id_y 0
		.amdhsa_system_sgpr_workgroup_id_z 0
		.amdhsa_system_sgpr_workgroup_info 0
		.amdhsa_system_vgpr_workitem_id 0
		.amdhsa_next_free_vgpr 8
		.amdhsa_next_free_sgpr 23
		.amdhsa_named_barrier_count 0
		.amdhsa_reserve_vcc 1
		.amdhsa_float_round_mode_32 0
		.amdhsa_float_round_mode_16_64 0
		.amdhsa_float_denorm_mode_32 3
		.amdhsa_float_denorm_mode_16_64 3
		.amdhsa_fp16_overflow 0
		.amdhsa_memory_ordered 1
		.amdhsa_forward_progress 1
		.amdhsa_inst_pref_size 4
		.amdhsa_round_robin_scheduling 0
		.amdhsa_exception_fp_ieee_invalid_op 0
		.amdhsa_exception_fp_denorm_src 0
		.amdhsa_exception_fp_ieee_div_zero 0
		.amdhsa_exception_fp_ieee_overflow 0
		.amdhsa_exception_fp_ieee_underflow 0
		.amdhsa_exception_fp_ieee_inexact 0
		.amdhsa_exception_int_div_zero 0
	.end_amdhsa_kernel
	.section	.text._ZN9rocsolver6v33100L18stebz_case1_kernelIfPfEEv15rocblas_erange_T_S4_T0_ilPiS6_PS4_lS6_lS6_li,"axG",@progbits,_ZN9rocsolver6v33100L18stebz_case1_kernelIfPfEEv15rocblas_erange_T_S4_T0_ilPiS6_PS4_lS6_lS6_li,comdat
.Lfunc_end3:
	.size	_ZN9rocsolver6v33100L18stebz_case1_kernelIfPfEEv15rocblas_erange_T_S4_T0_ilPiS6_PS4_lS6_lS6_li, .Lfunc_end3-_ZN9rocsolver6v33100L18stebz_case1_kernelIfPfEEv15rocblas_erange_T_S4_T0_ilPiS6_PS4_lS6_lS6_li
                                        ; -- End function
	.set _ZN9rocsolver6v33100L18stebz_case1_kernelIfPfEEv15rocblas_erange_T_S4_T0_ilPiS6_PS4_lS6_lS6_li.num_vgpr, 8
	.set _ZN9rocsolver6v33100L18stebz_case1_kernelIfPfEEv15rocblas_erange_T_S4_T0_ilPiS6_PS4_lS6_lS6_li.num_agpr, 0
	.set _ZN9rocsolver6v33100L18stebz_case1_kernelIfPfEEv15rocblas_erange_T_S4_T0_ilPiS6_PS4_lS6_lS6_li.numbered_sgpr, 23
	.set _ZN9rocsolver6v33100L18stebz_case1_kernelIfPfEEv15rocblas_erange_T_S4_T0_ilPiS6_PS4_lS6_lS6_li.num_named_barrier, 0
	.set _ZN9rocsolver6v33100L18stebz_case1_kernelIfPfEEv15rocblas_erange_T_S4_T0_ilPiS6_PS4_lS6_lS6_li.private_seg_size, 0
	.set _ZN9rocsolver6v33100L18stebz_case1_kernelIfPfEEv15rocblas_erange_T_S4_T0_ilPiS6_PS4_lS6_lS6_li.uses_vcc, 1
	.set _ZN9rocsolver6v33100L18stebz_case1_kernelIfPfEEv15rocblas_erange_T_S4_T0_ilPiS6_PS4_lS6_lS6_li.uses_flat_scratch, 0
	.set _ZN9rocsolver6v33100L18stebz_case1_kernelIfPfEEv15rocblas_erange_T_S4_T0_ilPiS6_PS4_lS6_lS6_li.has_dyn_sized_stack, 0
	.set _ZN9rocsolver6v33100L18stebz_case1_kernelIfPfEEv15rocblas_erange_T_S4_T0_ilPiS6_PS4_lS6_lS6_li.has_recursion, 0
	.set _ZN9rocsolver6v33100L18stebz_case1_kernelIfPfEEv15rocblas_erange_T_S4_T0_ilPiS6_PS4_lS6_lS6_li.has_indirect_call, 0
	.section	.AMDGPU.csdata,"",@progbits
; Kernel info:
; codeLenInByte = 488
; TotalNumSgprs: 25
; NumVgprs: 8
; ScratchSize: 0
; MemoryBound: 0
; FloatMode: 240
; IeeeMode: 1
; LDSByteSize: 0 bytes/workgroup (compile time only)
; SGPRBlocks: 0
; VGPRBlocks: 0
; NumSGPRsForWavesPerEU: 25
; NumVGPRsForWavesPerEU: 8
; NamedBarCnt: 0
; Occupancy: 16
; WaveLimiterHint : 0
; COMPUTE_PGM_RSRC2:SCRATCH_EN: 0
; COMPUTE_PGM_RSRC2:USER_SGPR: 2
; COMPUTE_PGM_RSRC2:TRAP_HANDLER: 0
; COMPUTE_PGM_RSRC2:TGID_X_EN: 1
; COMPUTE_PGM_RSRC2:TGID_Y_EN: 0
; COMPUTE_PGM_RSRC2:TGID_Z_EN: 0
; COMPUTE_PGM_RSRC2:TIDIG_COMP_CNT: 0
	.section	.text._ZN9rocsolver6v33100L22stebz_splitting_kernelIfPfEEv15rocblas_erange_iT_S4_iiT0_iiS5_iiPiPS4_lS6_lS6_S7_S7_S7_S7_S6_S4_S4_,"axG",@progbits,_ZN9rocsolver6v33100L22stebz_splitting_kernelIfPfEEv15rocblas_erange_iT_S4_iiT0_iiS5_iiPiPS4_lS6_lS6_S7_S7_S7_S7_S6_S4_S4_,comdat
	.globl	_ZN9rocsolver6v33100L22stebz_splitting_kernelIfPfEEv15rocblas_erange_iT_S4_iiT0_iiS5_iiPiPS4_lS6_lS6_S7_S7_S7_S7_S6_S4_S4_ ; -- Begin function _ZN9rocsolver6v33100L22stebz_splitting_kernelIfPfEEv15rocblas_erange_iT_S4_iiT0_iiS5_iiPiPS4_lS6_lS6_S7_S7_S7_S7_S6_S4_S4_
	.p2align	8
	.type	_ZN9rocsolver6v33100L22stebz_splitting_kernelIfPfEEv15rocblas_erange_iT_S4_iiT0_iiS5_iiPiPS4_lS6_lS6_S7_S7_S7_S7_S6_S4_S4_,@function
_ZN9rocsolver6v33100L22stebz_splitting_kernelIfPfEEv15rocblas_erange_iT_S4_iiT0_iiS5_iiPiPS4_lS6_lS6_S7_S7_S7_S7_S6_S4_S4_: ; @_ZN9rocsolver6v33100L22stebz_splitting_kernelIfPfEEv15rocblas_erange_iT_S4_iiT0_iiS5_iiPiPS4_lS6_lS6_S7_S7_S7_S7_S6_S4_S4_
; %bb.0:
	s_clause 0x1
	s_load_b128 s[20:23], s[0:1], 0x0
	s_load_b64 s[30:31], s[0:1], 0x10
	s_bfe_u32 s2, ttmp6, 0x40010
	s_bfe_u32 s3, ttmp6, 0x40004
	s_add_co_i32 s2, s2, 1
	s_getreg_b32 s4, hwreg(HW_REG_IB_STS2, 6, 4)
	s_mul_i32 s2, ttmp7, s2
	v_dual_lshlrev_b32 v2, 2, v0 :: v_dual_mov_b32 v4, 0
	s_add_co_i32 s3, s3, s2
	s_cmp_eq_u32 s4, 0
	v_mov_b32_e32 v8, 0
	s_cselect_b32 s28, ttmp7, s3
	s_mov_b32 s6, -1
	s_wait_kmcnt 0x0
	s_add_co_i32 s33, s21, -1
	s_delay_alu instid0(SALU_CYCLE_1) | instskip(NEXT) | instid1(SALU_CYCLE_1)
	s_ashr_i32 s2, s33, 31
	s_lshr_b32 s2, s2, 24
	s_delay_alu instid0(SALU_CYCLE_1) | instskip(NEXT) | instid1(SALU_CYCLE_1)
	s_add_co_i32 s2, s33, s2
	s_and_b32 s3, s2, 0xffffff00
	s_ashr_i32 s2, s2, 8
	s_sub_co_i32 s3, s33, s3
	s_delay_alu instid0(SALU_CYCLE_1)
	v_cmp_gt_i32_e32 vcc_lo, s3, v0
	v_add_co_ci_u32_e64 v1, null, s2, 0, vcc_lo
	v_cmp_eq_u32_e64 s2, 0, v0
	v_cmp_ne_u32_e32 vcc_lo, 0, v0
	ds_store_b32 v2, v1
	s_wait_dscnt 0x0
	s_barrier_signal -1
	s_barrier_wait -1
	s_and_saveexec_b32 s4, vcc_lo
	s_cbranch_execz .LBB4_16
; %bb.1:
	v_dual_mov_b32 v8, 0 :: v_dual_mov_b32 v3, 0
	s_mov_b32 s5, exec_lo
	v_cmpx_lt_u32_e32 3, v0
	s_cbranch_execz .LBB4_11
; %bb.2:
	v_dual_mov_b32 v10, 0 :: v_dual_add_nc_u32 v3, -4, v0
	v_mov_b64_e32 v[6:7], 0
	v_mov_b64_e32 v[8:9], 0
	s_delay_alu instid0(VALU_DEP_3) | instskip(SKIP_1) | instid1(VALU_DEP_2)
	v_lshrrev_b32_e32 v5, 2, v3
	v_cmp_lt_u32_e64 s3, 27, v3
	v_add_nc_u32_e32 v3, 1, v5
	s_and_saveexec_b32 s6, s3
	s_cbranch_execz .LBB4_6
; %bb.3:
	s_delay_alu instid0(VALU_DEP_1)
	v_and_b32_e32 v5, 0x7ffffff8, v3
	v_dual_mov_b32 v9, 0 :: v_dual_mov_b32 v8, 0
	v_dual_mov_b32 v7, 0 :: v_dual_mov_b32 v6, 0
	s_mov_b32 s7, 0
	s_mov_b32 s8, 0
	;; [unrolled: 1-line block ×3, first 2 shown]
.LBB4_4:                                ; =>This Inner Loop Header: Depth=1
	v_mov_b32_e32 v30, s8
	s_add_co_i32 s9, s9, 32
	s_addk_co_i32 s8, 0x80
	ds_load_b128 v[10:13], v30
	ds_load_b128 v[14:17], v30 offset:16
	ds_load_b128 v[18:21], v30 offset:32
	;; [unrolled: 1-line block ×4, first 2 shown]
	v_add_nc_u32_e32 v5, -8, v5
	s_delay_alu instid0(VALU_DEP_1)
	v_cmp_eq_u32_e64 s3, 0, v5
	s_or_b32 s7, s3, s7
	s_wait_dscnt 0x4
	v_dual_add_nc_u32 v11, v11, v9 :: v_dual_add_nc_u32 v10, v10, v8
	v_dual_add_nc_u32 v13, v13, v7 :: v_dual_add_nc_u32 v12, v12, v6
	ds_load_b128 v[6:9], v30 offset:80
	s_wait_dscnt 0x4
	v_dual_add_nc_u32 v11, v15, v11 :: v_dual_add_nc_u32 v10, v14, v10
	v_dual_add_nc_u32 v17, v17, v13 :: v_dual_add_nc_u32 v16, v16, v12
	ds_load_b128 v[12:15], v30 offset:96
	;; [unrolled: 4-line block ×3, first 2 shown]
	s_wait_dscnt 0x4
	v_dual_add_nc_u32 v11, v23, v11 :: v_dual_add_nc_u32 v10, v22, v10
	v_dual_add_nc_u32 v21, v25, v21 :: v_dual_add_nc_u32 v20, v24, v20
	s_wait_dscnt 0x3
	s_delay_alu instid0(VALU_DEP_2) | instskip(NEXT) | instid1(VALU_DEP_2)
	v_dual_add_nc_u32 v11, v27, v11 :: v_dual_add_nc_u32 v10, v26, v10
	v_dual_add_nc_u32 v21, v29, v21 :: v_dual_add_nc_u32 v20, v28, v20
	s_wait_dscnt 0x2
	s_delay_alu instid0(VALU_DEP_2) | instskip(NEXT) | instid1(VALU_DEP_2)
	v_dual_add_nc_u32 v7, v7, v11 :: v_dual_add_nc_u32 v6, v6, v10
	v_dual_add_nc_u32 v9, v9, v21 :: v_dual_add_nc_u32 v8, v8, v20
	s_wait_dscnt 0x1
	s_delay_alu instid0(VALU_DEP_2) | instskip(NEXT) | instid1(VALU_DEP_2)
	v_dual_mov_b32 v10, s9 :: v_dual_add_nc_u32 v7, v13, v7
	v_dual_add_nc_u32 v6, v12, v6 :: v_dual_add_nc_u32 v11, v15, v9
	s_wait_dscnt 0x0
	s_delay_alu instid0(VALU_DEP_2) | instskip(NEXT) | instid1(VALU_DEP_2)
	v_dual_add_nc_u32 v12, v14, v8 :: v_dual_add_nc_u32 v9, v17, v7
	v_dual_add_nc_u32 v8, v16, v6 :: v_dual_add_nc_u32 v7, v19, v11
	s_delay_alu instid0(VALU_DEP_2)
	v_add_nc_u32_e32 v6, v18, v12
	s_and_not1_b32 exec_lo, exec_lo, s7
	s_cbranch_execnz .LBB4_4
; %bb.5:
	s_or_b32 exec_lo, exec_lo, s7
.LBB4_6:
	s_delay_alu instid0(SALU_CYCLE_1) | instskip(NEXT) | instid1(VALU_DEP_1)
	s_or_b32 exec_lo, exec_lo, s6
	v_and_b32_e32 v3, 7, v3
	s_mov_b32 s7, 0
	s_mov_b32 s6, exec_lo
	s_delay_alu instid0(VALU_DEP_1)
	v_cmpx_ne_u32_e32 0, v3
	s_cbranch_execz .LBB4_10
; %bb.7:
	v_lshlrev_b32_e32 v5, 2, v10
.LBB4_8:                                ; =>This Inner Loop Header: Depth=1
	ds_load_b128 v[10:13], v5
	v_dual_add_nc_u32 v3, -1, v3 :: v_dual_add_nc_u32 v5, 16, v5
	s_delay_alu instid0(VALU_DEP_1)
	v_cmp_eq_u32_e64 s3, 0, v3
	s_or_b32 s7, s3, s7
	s_wait_dscnt 0x0
	v_dual_add_nc_u32 v9, v11, v9 :: v_dual_add_nc_u32 v8, v10, v8
	v_dual_add_nc_u32 v7, v13, v7 :: v_dual_add_nc_u32 v6, v12, v6
	s_and_not1_b32 exec_lo, exec_lo, s7
	s_cbranch_execnz .LBB4_8
; %bb.9:
	s_or_b32 exec_lo, exec_lo, s7
.LBB4_10:
	s_delay_alu instid0(SALU_CYCLE_1) | instskip(SKIP_2) | instid1(VALU_DEP_2)
	s_or_b32 exec_lo, exec_lo, s6
	v_and_b32_e32 v3, 0xfc, v0
	v_add_nc_u32_e32 v5, v7, v9
	v_cmp_ne_u32_e64 s3, v0, v3
	s_delay_alu instid0(VALU_DEP_2)
	v_add3_u32 v8, v6, v8, v5
	s_or_not1_b32 s6, s3, exec_lo
.LBB4_11:
	s_or_b32 exec_lo, exec_lo, s5
	s_and_saveexec_b32 s5, s6
	s_cbranch_execz .LBB4_15
; %bb.12:
	v_dual_sub_nc_u32 v5, v0, v3 :: v_dual_lshlrev_b32 v3, 2, v3
	s_mov_b32 s6, 0
.LBB4_13:                               ; =>This Inner Loop Header: Depth=1
	ds_load_b32 v6, v3
	v_dual_add_nc_u32 v5, -1, v5 :: v_dual_add_nc_u32 v3, 4, v3
	s_delay_alu instid0(VALU_DEP_1)
	v_cmp_eq_u32_e64 s3, 0, v5
	s_or_b32 s6, s3, s6
	s_wait_dscnt 0x0
	v_add_nc_u32_e32 v8, v6, v8
	s_and_not1_b32 exec_lo, exec_lo, s6
	s_cbranch_execnz .LBB4_13
; %bb.14:
	s_or_b32 exec_lo, exec_lo, s6
.LBB4_15:
	s_delay_alu instid0(SALU_CYCLE_1)
	s_or_b32 exec_lo, exec_lo, s5
.LBB4_16:
	s_delay_alu instid0(SALU_CYCLE_1)
	s_or_b32 exec_lo, exec_lo, s4
	s_clause 0x2
	s_load_b128 s[24:27], s[0:1], 0x18
	s_load_b512 s[4:19], s[0:1], 0x38
	s_load_b64 s[34:35], s[0:1], 0x90
	s_mul_i32 s38, s21, s28
	v_ashrrev_i32_e32 v9, 31, v8
	s_ashr_i32 s39, s38, 31
	s_ashr_i32 s29, s28, 31
	s_lshl_b64 s[40:41], s[38:39], 2
	s_mul_i32 s36, s33, s28
	s_delay_alu instid0(SALU_CYCLE_1)
	s_ashr_i32 s37, s36, 31
	s_wait_kmcnt 0x0
	s_ashr_i32 s43, s27, 31
	s_add_nc_u64 s[14:15], s[14:15], s[40:41]
	s_mov_b32 s42, s27
	v_lshl_add_u64 v[6:7], v[8:9], 2, s[14:15]
	s_ashr_i32 s39, s26, 31
	s_mov_b32 s38, s26
	s_mul_u64 s[26:27], s[42:43], s[28:29]
	s_mul_u64 s[14:15], s[8:9], s[28:29]
	s_mov_b32 s8, exec_lo
	v_cmpx_lt_i32_e32 0, v1
	s_cbranch_execz .LBB4_22
; %bb.17:
	s_load_b128 s[40:43], s[0:1], 0x28
	s_lshl_b64 s[44:45], s[26:27], 2
	s_lshl_b64 s[46:47], s[38:39], 2
	;; [unrolled: 1-line block ×4, first 2 shown]
	s_add_nc_u64 s[44:45], s[44:45], s[46:47]
	s_add_nc_u64 s[46:47], s[18:19], s[48:49]
	;; [unrolled: 1-line block ×3, first 2 shown]
	v_lshlrev_b64_e32 v[4:5], 2, v[8:9]
	s_add_nc_u64 s[44:45], s[24:25], s[44:45]
	s_mov_b32 s9, 0
	s_delay_alu instid0(VALU_DEP_1)
	v_add_nc_u64_e32 v[10:11], s[44:45], v[4:5]
	v_add_nc_u64_e32 v[12:13], s[46:47], v[4:5]
	v_add_nc_u64_e32 v[16:17], s[48:49], v[4:5]
	s_wait_kmcnt 0x0
	s_ashr_i32 s53, s43, 31
	s_mov_b32 s52, s43
	s_ashr_i32 s51, s42, 31
	s_mov_b32 s50, s42
	s_mul_u64 s[42:43], s[28:29], s[52:53]
	s_lshl_b64 s[50:51], s[50:51], 2
	s_lshl_b64 s[42:43], s[42:43], 2
	s_delay_alu instid0(SALU_CYCLE_1) | instskip(NEXT) | instid1(SALU_CYCLE_1)
	s_add_nc_u64 s[42:43], s[42:43], s[50:51]
	s_add_nc_u64 s[40:41], s[40:41], s[42:43]
	s_delay_alu instid0(SALU_CYCLE_1)
	v_add_nc_u64_e32 v[14:15], s[40:41], v[4:5]
	v_mov_b32_e32 v4, 0
	s_branch .LBB4_19
.LBB4_18:                               ;   in Loop: Header=BB4_19 Depth=1
	s_wait_xcnt 0x0
	s_or_b32 exec_lo, exec_lo, s40
	v_dual_add_nc_u32 v1, -1, v1 :: v_dual_add_nc_u32 v8, 1, v8
	global_store_b32 v[12:13], v21, off
	global_store_b32 v[16:17], v19, off
	v_add_nc_u64_e32 v[14:15], 4, v[14:15]
	v_add_nc_u64_e32 v[10:11], 4, v[10:11]
	s_wait_xcnt 0x1
	v_add_nc_u64_e32 v[12:13], 4, v[12:13]
	v_cmp_eq_u32_e64 s3, 0, v1
	s_wait_xcnt 0x0
	v_add_nc_u64_e32 v[16:17], 4, v[16:17]
	s_or_b32 s9, s3, s9
	s_delay_alu instid0(SALU_CYCLE_1)
	s_and_not1_b32 exec_lo, exec_lo, s9
	s_cbranch_execz .LBB4_21
.LBB4_19:                               ; =>This Inner Loop Header: Depth=1
	global_load_b64 v[20:21], v[10:11], off
	global_load_b32 v19, v[14:15], off
	s_mov_b32 s40, exec_lo
	s_wait_loadcnt 0x1
	v_dual_mov_b32 v18, s34 :: v_dual_mul_f32 v3, v20, v21
	s_wait_loadcnt 0x0
	v_mov_b32_e32 v21, v19
	s_delay_alu instid0(VALU_DEP_2) | instskip(NEXT) | instid1(VALU_DEP_1)
	v_mul_f32_e64 v20, s34, |v3|
	v_pk_mul_f32 v[20:21], v[18:19], v[20:21]
	s_delay_alu instid0(VALU_DEP_1) | instskip(SKIP_1) | instid1(VALU_DEP_1)
	v_add_f32_e32 v3, s35, v20
	s_wait_xcnt 0x0
	v_cmpx_gt_f32_e32 v3, v21
	s_cbranch_execz .LBB4_18
; %bb.20:                               ;   in Loop: Header=BB4_19 Depth=1
	v_dual_ashrrev_i32 v5, 31, v4 :: v_dual_add_nc_u32 v3, 1, v4
	v_dual_mov_b32 v21, 0 :: v_dual_mov_b32 v19, 0
	s_delay_alu instid0(VALU_DEP_2) | instskip(NEXT) | instid1(VALU_DEP_3)
	v_lshl_add_u64 v[22:23], v[4:5], 2, v[6:7]
	v_mov_b32_e32 v4, v3
	global_store_b32 v[22:23], v8, off
	s_branch .LBB4_18
.LBB4_21:
	s_or_b32 exec_lo, exec_lo, s9
.LBB4_22:
	s_delay_alu instid0(SALU_CYCLE_1)
	s_or_b32 exec_lo, exec_lo, s8
	v_mov_b32_e32 v8, 0
	ds_store_b32 v2, v4
	s_wait_storecnt_dscnt 0x0
	s_barrier_signal -1
	s_barrier_wait -1
	s_and_saveexec_b32 s3, vcc_lo
	s_cbranch_execz .LBB4_38
; %bb.23:
	v_dual_mov_b32 v8, 0 :: v_dual_mov_b32 v1, 0
	s_mov_b32 s9, -1
	s_mov_b32 s8, exec_lo
	v_cmpx_lt_u32_e32 3, v0
	s_cbranch_execz .LBB4_33
; %bb.24:
	v_dual_add_nc_u32 v1, -4, v0 :: v_dual_mov_b32 v5, 0
	v_mov_b64_e32 v[8:9], 0
	v_mov_b64_e32 v[10:11], 0
	s_delay_alu instid0(VALU_DEP_3) | instskip(SKIP_1) | instid1(VALU_DEP_2)
	v_lshrrev_b32_e32 v3, 2, v1
	v_cmp_lt_u32_e32 vcc_lo, 27, v1
	v_add_nc_u32_e32 v1, 1, v3
	s_and_saveexec_b32 s9, vcc_lo
	s_cbranch_execz .LBB4_28
; %bb.25:
	s_delay_alu instid0(VALU_DEP_1)
	v_and_b32_e32 v3, 0x7ffffff8, v1
	v_dual_mov_b32 v11, 0 :: v_dual_mov_b32 v10, 0
	v_dual_mov_b32 v9, 0 :: v_dual_mov_b32 v8, 0
	s_mov_b32 s40, 0
	s_mov_b32 s41, 0
	;; [unrolled: 1-line block ×3, first 2 shown]
.LBB4_26:                               ; =>This Inner Loop Header: Depth=1
	v_mov_b32_e32 v5, s41
	s_add_co_i32 s42, s42, 32
	s_addk_co_i32 s41, 0x80
	ds_load_b128 v[12:15], v5
	ds_load_b128 v[16:19], v5 offset:16
	ds_load_b128 v[20:23], v5 offset:32
	;; [unrolled: 1-line block ×4, first 2 shown]
	v_add_nc_u32_e32 v3, -8, v3
	s_delay_alu instid0(VALU_DEP_1)
	v_cmp_eq_u32_e32 vcc_lo, 0, v3
	s_or_b32 s40, vcc_lo, s40
	s_wait_dscnt 0x4
	v_dual_add_nc_u32 v13, v13, v11 :: v_dual_add_nc_u32 v12, v12, v10
	v_dual_add_nc_u32 v15, v15, v9 :: v_dual_add_nc_u32 v14, v14, v8
	ds_load_b128 v[8:11], v5 offset:80
	s_wait_dscnt 0x4
	v_dual_add_nc_u32 v17, v17, v13 :: v_dual_add_nc_u32 v16, v16, v12
	v_dual_add_nc_u32 v19, v19, v15 :: v_dual_add_nc_u32 v18, v18, v14
	ds_load_b128 v[12:15], v5 offset:96
	s_wait_dscnt 0x4
	v_dual_add_nc_u32 v21, v21, v17 :: v_dual_add_nc_u32 v20, v20, v16
	v_dual_add_nc_u32 v23, v23, v19 :: v_dual_add_nc_u32 v22, v22, v18
	ds_load_b128 v[16:19], v5 offset:112
	s_wait_dscnt 0x4
	v_dual_add_nc_u32 v5, v25, v21 :: v_dual_add_nc_u32 v20, v24, v20
	v_dual_add_nc_u32 v21, v27, v23 :: v_dual_add_nc_u32 v22, v26, v22
	s_wait_dscnt 0x3
	s_delay_alu instid0(VALU_DEP_2) | instskip(NEXT) | instid1(VALU_DEP_2)
	v_dual_add_nc_u32 v5, v29, v5 :: v_dual_add_nc_u32 v20, v28, v20
	v_dual_add_nc_u32 v21, v31, v21 :: v_dual_add_nc_u32 v22, v30, v22
	s_wait_dscnt 0x2
	s_delay_alu instid0(VALU_DEP_2) | instskip(NEXT) | instid1(VALU_DEP_2)
	;; [unrolled: 4-line block ×3, first 2 shown]
	v_dual_mov_b32 v5, s42 :: v_dual_add_nc_u32 v9, v13, v9
	v_dual_add_nc_u32 v8, v12, v8 :: v_dual_add_nc_u32 v12, v15, v11
	s_wait_dscnt 0x0
	s_delay_alu instid0(VALU_DEP_2) | instskip(NEXT) | instid1(VALU_DEP_2)
	v_dual_add_nc_u32 v13, v14, v10 :: v_dual_add_nc_u32 v11, v17, v9
	v_add_nc_u32_e32 v10, v16, v8
	s_delay_alu instid0(VALU_DEP_2)
	v_dual_add_nc_u32 v9, v19, v12 :: v_dual_add_nc_u32 v8, v18, v13
	s_and_not1_b32 exec_lo, exec_lo, s40
	s_cbranch_execnz .LBB4_26
; %bb.27:
	s_or_b32 exec_lo, exec_lo, s40
.LBB4_28:
	s_delay_alu instid0(SALU_CYCLE_1) | instskip(NEXT) | instid1(VALU_DEP_1)
	s_or_b32 exec_lo, exec_lo, s9
	v_and_b32_e32 v1, 7, v1
	s_mov_b32 s40, 0
	s_mov_b32 s9, exec_lo
	s_delay_alu instid0(VALU_DEP_1)
	v_cmpx_ne_u32_e32 0, v1
	s_cbranch_execz .LBB4_32
; %bb.29:
	v_lshlrev_b32_e32 v3, 2, v5
.LBB4_30:                               ; =>This Inner Loop Header: Depth=1
	ds_load_b128 v[12:15], v3
	v_dual_add_nc_u32 v1, -1, v1 :: v_dual_add_nc_u32 v3, 16, v3
	s_delay_alu instid0(VALU_DEP_1)
	v_cmp_eq_u32_e32 vcc_lo, 0, v1
	s_or_b32 s40, vcc_lo, s40
	s_wait_dscnt 0x0
	v_dual_add_nc_u32 v11, v13, v11 :: v_dual_add_nc_u32 v10, v12, v10
	v_dual_add_nc_u32 v9, v15, v9 :: v_dual_add_nc_u32 v8, v14, v8
	s_and_not1_b32 exec_lo, exec_lo, s40
	s_cbranch_execnz .LBB4_30
; %bb.31:
	s_or_b32 exec_lo, exec_lo, s40
.LBB4_32:
	s_delay_alu instid0(SALU_CYCLE_1) | instskip(SKIP_2) | instid1(VALU_DEP_2)
	s_or_b32 exec_lo, exec_lo, s9
	v_and_b32_e32 v1, 0xfc, v0
	v_add_nc_u32_e32 v3, v9, v11
	v_cmp_ne_u32_e32 vcc_lo, v0, v1
	s_delay_alu instid0(VALU_DEP_2)
	v_add3_u32 v8, v8, v10, v3
	s_or_not1_b32 s9, vcc_lo, exec_lo
.LBB4_33:
	s_or_b32 exec_lo, exec_lo, s8
	s_and_saveexec_b32 s8, s9
	s_cbranch_execz .LBB4_37
; %bb.34:
	v_dual_sub_nc_u32 v3, v0, v1 :: v_dual_lshlrev_b32 v1, 2, v1
	s_mov_b32 s9, 0
.LBB4_35:                               ; =>This Inner Loop Header: Depth=1
	ds_load_b32 v5, v1
	v_dual_add_nc_u32 v3, -1, v3 :: v_dual_add_nc_u32 v1, 4, v1
	s_delay_alu instid0(VALU_DEP_1)
	v_cmp_eq_u32_e32 vcc_lo, 0, v3
	s_or_b32 s9, vcc_lo, s9
	s_wait_dscnt 0x0
	v_add_nc_u32_e32 v8, v5, v8
	s_and_not1_b32 exec_lo, exec_lo, s9
	s_cbranch_execnz .LBB4_35
; %bb.36:
	s_or_b32 exec_lo, exec_lo, s9
.LBB4_37:
	s_delay_alu instid0(SALU_CYCLE_1)
	s_or_b32 exec_lo, exec_lo, s8
.LBB4_38:
	s_delay_alu instid0(SALU_CYCLE_1)
	s_or_b32 exec_lo, exec_lo, s3
	s_mul_u64 s[8:9], s[12:13], s[28:29]
	s_mov_b32 s12, 0
	s_mov_b32 s3, exec_lo
	v_cmpx_lt_i32_e32 0, v4
	s_cbranch_execz .LBB4_41
; %bb.39:
	v_dual_ashrrev_i32 v9, 31, v8 :: v_dual_mov_b32 v1, v4
	s_lshl_b64 s[40:41], s[8:9], 2
	s_delay_alu instid0(SALU_CYCLE_1)
	s_add_nc_u64 s[40:41], s[10:11], s[40:41]
	s_delay_alu instid0(VALU_DEP_1) | instid1(SALU_CYCLE_1)
	v_lshl_add_u64 v[10:11], v[8:9], 2, s[40:41]
.LBB4_40:                               ; =>This Inner Loop Header: Depth=1
	global_load_b32 v3, v[6:7], off
	v_add_nc_u32_e32 v1, -1, v1
	s_wait_xcnt 0x0
	v_add_nc_u64_e32 v[6:7], 4, v[6:7]
	s_wait_loadcnt 0x0
	v_add_nc_u32_e32 v3, 1, v3
	v_cmp_eq_u32_e32 vcc_lo, 0, v1
	global_store_b32 v[10:11], v3, off
	s_wait_xcnt 0x0
	v_add_nc_u64_e32 v[10:11], 4, v[10:11]
	s_or_b32 s12, vcc_lo, s12
	s_delay_alu instid0(SALU_CYCLE_1)
	s_and_not1_b32 exec_lo, exec_lo, s12
	s_cbranch_execnz .LBB4_40
.LBB4_41:
	s_or_b32 exec_lo, exec_lo, s3
	v_cmp_eq_u32_e64 s3, 0xff, v0
	s_and_saveexec_b32 s12, s3
	s_cbranch_execz .LBB4_43
; %bb.42:
	v_dual_add_nc_u32 v1, v8, v4 :: v_dual_mov_b32 v3, 0
	v_mov_b32_e32 v4, s21
	s_lshl_b64 s[8:9], s[8:9], 2
	s_lshl_b64 s[40:41], s[28:29], 2
	s_delay_alu instid0(VALU_DEP_2)
	v_add_nc_u32_e32 v5, 1, v1
	s_add_nc_u64 s[8:9], s[10:11], s[8:9]
	s_add_nc_u64 s[4:5], s[4:5], s[40:41]
	global_store_b32 v1, v4, s[8:9] scale_offset
	global_store_b32 v3, v5, s[4:5]
.LBB4_43:
	s_wait_xcnt 0x0
	s_or_b32 exec_lo, exec_lo, s12
	v_mov_b32_e32 v3, 0
	v_bfrev_b32_e32 v1, -2
	s_mov_b32 s5, exec_lo
	s_wait_storecnt 0x0
	s_barrier_signal -1
	s_barrier_wait -1
	v_cmpx_gt_i32_e64 s33, v0
	s_cbranch_execz .LBB4_47
; %bb.44:
	v_dual_mov_b32 v3, 0 :: v_dual_mov_b32 v6, v0
	s_lshl_b64 s[8:9], s[36:37], 2
	v_bfrev_b32_e32 v1, -2
	s_add_nc_u64 s[8:9], s[18:19], s[8:9]
	s_delay_alu instid0(VALU_DEP_2) | instid1(SALU_CYCLE_1)
	v_add_nc_u64_e32 v[4:5], s[8:9], v[2:3]
	s_mov_b32 s8, 0
.LBB4_45:                               ; =>This Inner Loop Header: Depth=1
	global_load_b32 v7, v[4:5], off
	v_cmp_eq_u32_e32 vcc_lo, 0x7fffffff, v1
	v_add_nc_u32_e32 v8, 1, v6
	s_wait_xcnt 0x0
	v_add_nc_u64_e32 v[4:5], 0x400, v[4:5]
	s_wait_loadcnt 0x0
	v_cmp_lt_f32_e64 s9, v3, |v7|
	s_or_b32 vcc_lo, s9, vcc_lo
	v_dual_cndmask_b32 v1, v1, v8 :: v_dual_add_nc_u32 v6, 0x100, v6
	v_cndmask_b32_e64 v3, v3, |v7|, vcc_lo
	s_delay_alu instid0(VALU_DEP_2) | instskip(SKIP_1) | instid1(SALU_CYCLE_1)
	v_cmp_le_i32_e64 s4, s33, v6
	s_or_b32 s8, s4, s8
	s_and_not1_b32 exec_lo, exec_lo, s8
	s_cbranch_execnz .LBB4_45
; %bb.46:
	s_or_b32 exec_lo, exec_lo, s8
.LBB4_47:
	s_delay_alu instid0(SALU_CYCLE_1)
	s_or_b32 exec_lo, exec_lo, s5
	s_cmp_lt_i32 s21, 3
	ds_store_b32 v2, v3 offset:1024
	ds_store_b32 v2, v1
	s_wait_dscnt 0x0
	s_barrier_signal -1
	s_barrier_wait -1
	s_cbranch_scc1 .LBB4_84
; %bb.48:
	v_or_b32_e32 v4, 0x400, v2
	s_mov_b32 s5, exec_lo
	v_cmpx_gt_u32_e32 0x80, v0
	s_cbranch_execz .LBB4_54
; %bb.49:
	ds_load_b32 v5, v4 offset:512
	ds_load_b32 v6, v2 offset:512
	s_mov_b32 s9, exec_lo
	s_wait_dscnt 0x1
	v_cmp_lt_f32_e64 s8, v3, v5
	v_cmpx_nlt_f32_e32 v3, v5
	s_cbranch_execz .LBB4_51
; %bb.50:
	v_cmp_eq_f32_e32 vcc_lo, v3, v5
	s_wait_dscnt 0x0
	v_cmp_gt_i32_e64 s4, v1, v6
	s_and_not1_b32 s8, s8, exec_lo
	s_and_b32 s4, vcc_lo, s4
	s_delay_alu instid0(SALU_CYCLE_1) | instskip(NEXT) | instid1(SALU_CYCLE_1)
	s_and_b32 s4, s4, exec_lo
	s_or_b32 s8, s8, s4
.LBB4_51:
	s_or_b32 exec_lo, exec_lo, s9
	s_and_saveexec_b32 s4, s8
	s_cbranch_execz .LBB4_53
; %bb.52:
	s_wait_dscnt 0x0
	v_dual_mov_b32 v1, v6 :: v_dual_mov_b32 v3, v5
	ds_store_b32 v4, v5
	ds_store_b32 v2, v6
.LBB4_53:
	s_or_b32 exec_lo, exec_lo, s4
.LBB4_54:
	s_delay_alu instid0(SALU_CYCLE_1) | instskip(NEXT) | instid1(SALU_CYCLE_1)
	s_or_b32 exec_lo, exec_lo, s5
	s_mov_b32 s5, exec_lo
	s_wait_dscnt 0x0
	s_barrier_signal -1
	s_barrier_wait -1
	v_cmpx_gt_u32_e32 64, v0
	s_cbranch_execz .LBB4_60
; %bb.55:
	ds_load_b32 v5, v4 offset:256
	ds_load_b32 v6, v2 offset:256
	s_mov_b32 s9, exec_lo
	s_wait_dscnt 0x1
	v_cmp_lt_f32_e64 s8, v3, v5
	v_cmpx_nlt_f32_e32 v3, v5
	s_cbranch_execz .LBB4_57
; %bb.56:
	v_cmp_eq_f32_e32 vcc_lo, v3, v5
	s_wait_dscnt 0x0
	v_cmp_gt_i32_e64 s4, v1, v6
	s_and_not1_b32 s8, s8, exec_lo
	s_and_b32 s4, vcc_lo, s4
	s_delay_alu instid0(SALU_CYCLE_1) | instskip(NEXT) | instid1(SALU_CYCLE_1)
	s_and_b32 s4, s4, exec_lo
	s_or_b32 s8, s8, s4
.LBB4_57:
	s_or_b32 exec_lo, exec_lo, s9
	s_and_saveexec_b32 s4, s8
	s_cbranch_execz .LBB4_59
; %bb.58:
	s_wait_dscnt 0x0
	v_dual_mov_b32 v1, v6 :: v_dual_mov_b32 v3, v5
	ds_store_b32 v4, v5
	ds_store_b32 v2, v6
.LBB4_59:
	s_or_b32 exec_lo, exec_lo, s4
.LBB4_60:
	s_delay_alu instid0(SALU_CYCLE_1) | instskip(NEXT) | instid1(SALU_CYCLE_1)
	s_or_b32 exec_lo, exec_lo, s5
	s_mov_b32 s8, exec_lo
	s_wait_dscnt 0x0
	s_barrier_signal -1
	s_barrier_wait -1
	v_cmpx_gt_u32_e32 32, v0
	s_cbranch_execz .LBB4_83
; %bb.61:
	ds_load_b32 v5, v4 offset:128
	ds_load_b32 v6, v2 offset:128
	s_mov_b32 s9, exec_lo
	s_wait_dscnt 0x1
	v_cmp_lt_f32_e64 s5, v3, v5
	v_cmpx_nlt_f32_e32 v3, v5
	s_cbranch_execz .LBB4_63
; %bb.62:
	v_cmp_eq_f32_e32 vcc_lo, v3, v5
	s_wait_dscnt 0x0
	v_cmp_gt_i32_e64 s4, v1, v6
	s_and_not1_b32 s5, s5, exec_lo
	s_and_b32 s4, vcc_lo, s4
	s_delay_alu instid0(SALU_CYCLE_1) | instskip(NEXT) | instid1(SALU_CYCLE_1)
	s_and_b32 s4, s4, exec_lo
	s_or_b32 s5, s5, s4
.LBB4_63:
	s_or_b32 exec_lo, exec_lo, s9
	s_and_saveexec_b32 s4, s5
	s_cbranch_execz .LBB4_65
; %bb.64:
	s_wait_dscnt 0x0
	v_dual_mov_b32 v3, v5 :: v_dual_mov_b32 v1, v6
	ds_store_b32 v4, v5
	ds_store_b32 v2, v6
.LBB4_65:
	s_or_b32 exec_lo, exec_lo, s4
	ds_load_b32 v5, v4 offset:64
	s_wait_dscnt 0x1
	ds_load_b32 v6, v2 offset:64
	s_mov_b32 s9, exec_lo
	s_wait_dscnt 0x1
	v_cmp_lt_f32_e64 s5, v3, v5
	v_cmpx_nlt_f32_e32 v3, v5
	s_cbranch_execz .LBB4_67
; %bb.66:
	v_cmp_eq_f32_e32 vcc_lo, v3, v5
	s_wait_dscnt 0x0
	v_cmp_gt_i32_e64 s4, v1, v6
	s_and_not1_b32 s5, s5, exec_lo
	s_and_b32 s4, vcc_lo, s4
	s_delay_alu instid0(SALU_CYCLE_1) | instskip(NEXT) | instid1(SALU_CYCLE_1)
	s_and_b32 s4, s4, exec_lo
	s_or_b32 s5, s5, s4
.LBB4_67:
	s_or_b32 exec_lo, exec_lo, s9
	s_and_saveexec_b32 s4, s5
	s_cbranch_execz .LBB4_69
; %bb.68:
	s_wait_dscnt 0x0
	v_dual_mov_b32 v3, v5 :: v_dual_mov_b32 v1, v6
	ds_store_b32 v4, v5
	ds_store_b32 v2, v6
.LBB4_69:
	s_or_b32 exec_lo, exec_lo, s4
	ds_load_b32 v5, v4 offset:32
	s_wait_dscnt 0x1
	;; [unrolled: 28-line block ×5, first 2 shown]
	ds_load_b32 v6, v2 offset:4
	s_wait_dscnt 0x1
	v_cmp_eq_f32_e32 vcc_lo, v3, v5
	s_wait_dscnt 0x0
	v_cmp_gt_i32_e64 s4, v1, v6
	v_cmp_lt_f32_e64 s5, v3, v5
	s_and_b32 s4, vcc_lo, s4
	s_delay_alu instid0(SALU_CYCLE_1) | instskip(NEXT) | instid1(SALU_CYCLE_1)
	s_or_b32 s4, s5, s4
	s_and_b32 exec_lo, exec_lo, s4
	s_cbranch_execz .LBB4_83
; %bb.82:
	ds_store_b32 v4, v5
	ds_store_b32 v2, v6
.LBB4_83:
	s_or_b32 exec_lo, exec_lo, s8
.LBB4_84:
	v_dual_mov_b32 v1, 0 :: v_dual_mov_b32 v2, s23
	s_wait_dscnt 0x0
	s_barrier_signal -1
	s_barrier_wait -1
	ds_load_b32 v1, v1 offset:1024
	s_clause 0x1
	s_load_b128 s[8:11], s[0:1], 0x78
	s_load_b64 s[40:41], s[0:1], 0x88
	s_mov_b32 s13, -1
	s_wait_dscnt 0x0
	s_wait_xcnt 0x0
	v_readfirstlane_b32 s0, v1
	v_mov_b32_e32 v1, s22
	s_mul_f32 s0, s35, s0
	s_delay_alu instid0(SALU_CYCLE_3)
	s_cmp_lt_f32 s0, s35
	s_cselect_b32 s35, s35, s0
	s_cmp_lg_u32 s20, 0xe9
	s_cbranch_scc1 .LBB4_133
; %bb.85:
	s_lshl_b64 s[22:23], s[26:27], 2
	s_lshl_b32 s12, s21, 1
	s_lshl_b64 s[26:27], s[38:39], 2
	s_add_nc_u64 s[0:1], s[24:25], s[22:23]
	s_mul_i32 s4, s12, s28
	s_add_nc_u64 s[38:39], s[0:1], s[26:27]
	s_lshl_b64 s[0:1], s[36:37], 2
	s_ashr_i32 s5, s4, 31
	s_add_nc_u64 s[18:19], s[18:19], s[0:1]
	s_lshl_b64 s[0:1], s[14:15], 2
	s_lshl_b64 s[36:37], s[4:5], 2
	s_add_nc_u64 s[14:15], s[6:7], s[0:1]
	s_wait_kmcnt 0x0
	s_add_nc_u64 s[4:5], s[10:11], s[36:37]
	s_add_nc_u64 s[6:7], s[40:41], s[36:37]
	s_and_saveexec_b32 s1, s2
	s_cbranch_execz .LBB4_93
; %bb.86:
	v_mov_b32_e32 v5, 0
	s_cmp_gt_i32 s21, 1
	s_clause 0x1
	global_load_b32 v2, v5, s[14:15]
	global_load_b32 v1, v5, s[38:39]
	s_cselect_b32 s13, -1, 0
	s_cmp_lt_i32 s21, 2
	s_wait_loadcnt 0x1
	v_and_b32_e32 v3, 0x7fffffff, v2
	s_wait_loadcnt 0x0
	s_delay_alu instid0(VALU_DEP_1) | instskip(NEXT) | instid1(VALU_DEP_1)
	v_sub_f32_e32 v2, v1, v3
	v_sub_f32_e32 v6, v1, v2
	s_delay_alu instid0(VALU_DEP_1)
	v_cmp_ge_f32_e32 vcc_lo, s35, v6
	v_cndmask_b32_e64 v4, 0, 1, vcc_lo
	s_cbranch_scc1 .LBB4_89
; %bb.87:
	s_xor_b32 s42, s35, 0x80000000
	s_add_nc_u64 s[10:11], s[22:23], s[26:27]
	v_cmp_lt_f32_e64 s0, s42, v6
	s_add_nc_u64 s[10:11], s[24:25], s[10:11]
	s_mov_b64 s[36:37], s[18:19]
	s_add_nc_u64 s[10:11], s[10:11], 4
	s_mov_b32 s43, s33
	s_and_b32 s0, vcc_lo, s0
	s_delay_alu instid0(SALU_CYCLE_1)
	v_cndmask_b32_e64 v6, v6, s42, s0
.LBB4_88:                               ; =>This Inner Loop Header: Depth=1
	s_clause 0x1
	global_load_b32 v7, v5, s[36:37]
	global_load_b32 v8, v5, s[10:11]
	s_add_co_i32 s43, s43, -1
	s_wait_xcnt 0x0
	s_add_nc_u64 s[10:11], s[10:11], 4
	s_add_nc_u64 s[36:37], s[36:37], 4
	s_wait_loadcnt 0x1
	v_div_scale_f32 v9, null, v6, v6, v7
	v_div_scale_f32 v12, vcc_lo, v7, v6, v7
	s_wait_loadcnt 0x0
	v_sub_f32_e32 v8, v8, v2
	s_delay_alu instid0(VALU_DEP_3)
	v_rcp_f32_e32 v10, v9
	v_nop
	v_xor_b32_e32 v9, 0x80000000, v9
	s_delay_alu instid0(TRANS32_DEP_1) | instid1(VALU_DEP_1)
	v_fma_f32 v11, v9, v10, 1.0
	s_delay_alu instid0(VALU_DEP_1) | instskip(NEXT) | instid1(VALU_DEP_1)
	v_fmac_f32_e32 v10, v11, v10
	v_mul_f32_e32 v11, v12, v10
	s_delay_alu instid0(VALU_DEP_1) | instskip(NEXT) | instid1(VALU_DEP_1)
	v_fma_f32 v13, v9, v11, v12
	v_fmac_f32_e32 v11, v13, v10
	s_delay_alu instid0(VALU_DEP_1) | instskip(NEXT) | instid1(VALU_DEP_1)
	v_fmac_f32_e32 v12, v9, v11
	v_div_fmas_f32 v9, v12, v10, v11
	s_delay_alu instid0(VALU_DEP_1) | instskip(NEXT) | instid1(VALU_DEP_1)
	v_div_fixup_f32 v6, v9, v6, v7
	v_sub_f32_e32 v6, v8, v6
	s_delay_alu instid0(VALU_DEP_1)
	v_cmp_ge_f32_e32 vcc_lo, s35, v6
	v_cmp_lt_f32_e64 s0, s42, v6
	v_add_co_ci_u32_e64 v4, null, 0, v4, vcc_lo
	s_and_b32 s0, vcc_lo, s0
	s_cmp_lg_u32 s43, 0
	v_cndmask_b32_e64 v6, v6, s42, s0
	s_cbranch_scc1 .LBB4_88
.LBB4_89:
	v_add_f32_e32 v3, v1, v3
	s_and_not1_b32 vcc_lo, exec_lo, s13
	s_delay_alu instid0(VALU_DEP_1) | instskip(NEXT) | instid1(VALU_DEP_1)
	v_sub_f32_e32 v1, v1, v3
	v_cmp_ge_f32_e64 s0, s35, v1
	s_delay_alu instid0(VALU_DEP_1)
	v_cndmask_b32_e64 v5, 0, 1, s0
	s_cbranch_vccnz .LBB4_92
; %bb.90:
	s_xor_b32 s13, s35, 0x80000000
	s_add_nc_u64 s[10:11], s[22:23], s[26:27]
	v_cmp_lt_f32_e32 vcc_lo, s13, v1
	s_add_nc_u64 s[10:11], s[24:25], s[10:11]
	s_mov_b64 s[36:37], s[18:19]
	s_add_nc_u64 s[10:11], s[10:11], 4
	s_mov_b32 s42, s33
	s_and_b32 s0, s0, vcc_lo
	s_delay_alu instid0(SALU_CYCLE_1)
	v_cndmask_b32_e64 v6, v1, s13, s0
	v_mov_b32_e32 v1, 0
.LBB4_91:                               ; =>This Inner Loop Header: Depth=1
	s_clause 0x1
	global_load_b32 v7, v1, s[36:37]
	global_load_b32 v8, v1, s[10:11]
	s_add_co_i32 s42, s42, -1
	s_wait_xcnt 0x0
	s_add_nc_u64 s[10:11], s[10:11], 4
	s_add_nc_u64 s[36:37], s[36:37], 4
	s_wait_loadcnt 0x1
	v_div_scale_f32 v9, null, v6, v6, v7
	v_div_scale_f32 v12, vcc_lo, v7, v6, v7
	s_wait_loadcnt 0x0
	v_sub_f32_e32 v8, v8, v3
	s_delay_alu instid0(VALU_DEP_3)
	v_rcp_f32_e32 v10, v9
	v_nop
	v_xor_b32_e32 v9, 0x80000000, v9
	s_delay_alu instid0(TRANS32_DEP_1) | instid1(VALU_DEP_1)
	v_fma_f32 v11, v9, v10, 1.0
	s_delay_alu instid0(VALU_DEP_1) | instskip(NEXT) | instid1(VALU_DEP_1)
	v_fmac_f32_e32 v10, v11, v10
	v_mul_f32_e32 v11, v12, v10
	s_delay_alu instid0(VALU_DEP_1) | instskip(NEXT) | instid1(VALU_DEP_1)
	v_fma_f32 v13, v9, v11, v12
	v_fmac_f32_e32 v11, v13, v10
	s_delay_alu instid0(VALU_DEP_1) | instskip(NEXT) | instid1(VALU_DEP_1)
	v_fmac_f32_e32 v12, v9, v11
	v_div_fmas_f32 v9, v12, v10, v11
	s_delay_alu instid0(VALU_DEP_1) | instskip(NEXT) | instid1(VALU_DEP_1)
	v_div_fixup_f32 v6, v9, v6, v7
	v_sub_f32_e32 v6, v8, v6
	s_delay_alu instid0(VALU_DEP_1)
	v_cmp_ge_f32_e32 vcc_lo, s35, v6
	v_cmp_lt_f32_e64 s0, s13, v6
	v_add_co_ci_u32_e64 v5, null, 0, v5, vcc_lo
	s_and_b32 s0, vcc_lo, s0
	s_cmp_lg_u32 s42, 0
	v_cndmask_b32_e64 v6, v6, s13, s0
	s_cbranch_scc1 .LBB4_91
.LBB4_92:
	v_mov_b32_e32 v1, 0
	s_clause 0x1
	global_store_b64 v1, v[2:3], s[4:5]
	global_store_b64 v1, v[4:5], s[6:7]
.LBB4_93:
	s_wait_xcnt 0x0
	s_or_b32 exec_lo, exec_lo, s1
	v_add_nc_u32_e32 v0, 1, v0
	s_mov_b32 s13, exec_lo
	s_delay_alu instid0(VALU_DEP_1)
	v_cmpx_gt_i32_e64 s33, v0
	s_cbranch_execz .LBB4_100
; %bb.94:
	s_add_nc_u64 s[0:1], s[22:23], s[26:27]
	v_mov_b32_e32 v1, 0
	s_add_nc_u64 s[0:1], s[24:25], s[0:1]
	s_mov_b32 s42, 0
	s_add_nc_u64 s[0:1], s[0:1], 4
.LBB4_95:                               ; =>This Loop Header: Depth=1
                                        ;     Child Loop BB4_96 Depth 2
                                        ;     Child Loop BB4_98 Depth 2
	s_delay_alu instid0(VALU_DEP_1)
	v_lshl_add_u64 v[6:7], v[0:1], 2, s[14:15]
	s_mov_b32 s43, 1
	s_mov_b64 s[36:37], s[0:1]
	global_load_b64 v[8:9], v[6:7], off offset:-4
	s_clause 0x1
	global_load_b32 v3, v0, s[38:39] scale_offset
	global_load_b32 v5, v1, s[38:39]
	s_wait_loadcnt 0x2
	s_wait_xcnt 0x2
	v_add_f32_e64 v6, |v9|, |v8|
	s_wait_loadcnt 0x1
	s_delay_alu instid0(VALU_DEP_1) | instskip(SKIP_1) | instid1(VALU_DEP_1)
	v_sub_f32_e32 v2, v3, v6
	s_wait_loadcnt 0x0
	v_sub_f32_e32 v7, v5, v2
	s_delay_alu instid0(VALU_DEP_1)
	v_cmp_gt_f32_e64 s10, v7, -s35
	v_cmp_ge_f32_e32 vcc_lo, s35, v7
	s_and_b32 s10, vcc_lo, s10
	v_cndmask_b32_e64 v4, 0, 1, vcc_lo
	v_cndmask_b32_e64 v7, v7, -s35, s10
	s_mov_b64 s[10:11], s[18:19]
.LBB4_96:                               ;   Parent Loop BB4_95 Depth=1
                                        ; =>  This Inner Loop Header: Depth=2
	s_clause 0x1
	global_load_b32 v8, v1, s[10:11]
	global_load_b32 v9, v1, s[36:37]
	s_add_co_i32 s43, s43, 1
	s_wait_xcnt 0x0
	s_add_nc_u64 s[36:37], s[36:37], 4
	s_add_nc_u64 s[10:11], s[10:11], 4
	s_wait_loadcnt 0x1
	v_div_scale_f32 v10, null, v7, v7, v8
	v_div_scale_f32 v13, vcc_lo, v8, v7, v8
	s_wait_loadcnt 0x0
	v_sub_f32_e32 v9, v9, v2
	s_delay_alu instid0(VALU_DEP_3) | instskip(SKIP_1) | instid1(TRANS32_DEP_1)
	v_rcp_f32_e32 v11, v10
	v_nop
	v_fma_f32 v12, -v10, v11, 1.0
	s_delay_alu instid0(VALU_DEP_1) | instskip(NEXT) | instid1(VALU_DEP_1)
	v_fmac_f32_e32 v11, v12, v11
	v_mul_f32_e32 v12, v13, v11
	s_delay_alu instid0(VALU_DEP_1) | instskip(NEXT) | instid1(VALU_DEP_1)
	v_fma_f32 v14, -v10, v12, v13
	v_fmac_f32_e32 v12, v14, v11
	s_delay_alu instid0(VALU_DEP_1) | instskip(NEXT) | instid1(VALU_DEP_1)
	v_fma_f32 v10, -v10, v12, v13
	v_div_fmas_f32 v10, v10, v11, v12
	s_delay_alu instid0(VALU_DEP_1) | instskip(NEXT) | instid1(VALU_DEP_1)
	v_div_fixup_f32 v7, v10, v7, v8
	v_sub_f32_e32 v7, v9, v7
	s_delay_alu instid0(VALU_DEP_1)
	v_cmp_ge_f32_e32 vcc_lo, s35, v7
	v_cmp_gt_f32_e64 s44, v7, -s35
	v_add_co_ci_u32_e64 v4, null, 0, v4, vcc_lo
	s_and_b32 s44, vcc_lo, s44
	s_cmp_lg_u32 s21, s43
	v_cndmask_b32_e64 v7, v7, -s35, s44
	s_cbranch_scc1 .LBB4_96
; %bb.97:                               ;   in Loop: Header=BB4_95 Depth=1
	v_add_f32_e32 v3, v3, v6
	s_mov_b64 s[36:37], s[0:1]
	s_mov_b32 s43, s33
	s_delay_alu instid0(VALU_DEP_1) | instskip(NEXT) | instid1(VALU_DEP_1)
	v_sub_f32_e32 v6, v5, v3
	v_cmp_gt_f32_e64 s10, v6, -s35
	v_cmp_ge_f32_e32 vcc_lo, s35, v6
	s_and_b32 s10, vcc_lo, s10
	v_cndmask_b32_e64 v5, 0, 1, vcc_lo
	v_cndmask_b32_e64 v6, v6, -s35, s10
	s_mov_b64 s[10:11], s[18:19]
.LBB4_98:                               ;   Parent Loop BB4_95 Depth=1
                                        ; =>  This Inner Loop Header: Depth=2
	s_clause 0x1
	global_load_b32 v7, v1, s[10:11]
	global_load_b32 v8, v1, s[36:37]
	s_add_co_i32 s43, s43, -1
	s_wait_xcnt 0x0
	s_add_nc_u64 s[36:37], s[36:37], 4
	s_add_nc_u64 s[10:11], s[10:11], 4
	s_wait_loadcnt 0x1
	v_div_scale_f32 v9, null, v6, v6, v7
	v_div_scale_f32 v12, vcc_lo, v7, v6, v7
	s_wait_loadcnt 0x0
	v_sub_f32_e32 v8, v8, v3
	s_delay_alu instid0(VALU_DEP_3) | instskip(SKIP_1) | instid1(TRANS32_DEP_1)
	v_rcp_f32_e32 v10, v9
	v_nop
	v_fma_f32 v11, -v9, v10, 1.0
	s_delay_alu instid0(VALU_DEP_1) | instskip(NEXT) | instid1(VALU_DEP_1)
	v_fmac_f32_e32 v10, v11, v10
	v_mul_f32_e32 v11, v12, v10
	s_delay_alu instid0(VALU_DEP_1) | instskip(NEXT) | instid1(VALU_DEP_1)
	v_fma_f32 v13, -v9, v11, v12
	v_fmac_f32_e32 v11, v13, v10
	s_delay_alu instid0(VALU_DEP_1) | instskip(NEXT) | instid1(VALU_DEP_1)
	v_fma_f32 v9, -v9, v11, v12
	v_div_fmas_f32 v9, v9, v10, v11
	s_delay_alu instid0(VALU_DEP_1) | instskip(NEXT) | instid1(VALU_DEP_1)
	v_div_fixup_f32 v6, v9, v6, v7
	v_sub_f32_e32 v6, v8, v6
	s_delay_alu instid0(VALU_DEP_1)
	v_cmp_ge_f32_e32 vcc_lo, s35, v6
	v_cmp_gt_f32_e64 s44, v6, -s35
	v_add_co_ci_u32_e64 v5, null, 0, v5, vcc_lo
	s_and_b32 s44, vcc_lo, s44
	s_cmp_lg_u32 s43, 0
	v_cndmask_b32_e64 v6, v6, -s35, s44
	s_cbranch_scc1 .LBB4_98
; %bb.99:                               ;   in Loop: Header=BB4_95 Depth=1
	v_dual_mov_b32 v7, v1 :: v_dual_lshlrev_b32 v6, 1, v0
	v_add_nc_u32_e32 v0, 0x100, v0
	s_delay_alu instid0(VALU_DEP_2) | instskip(NEXT) | instid1(VALU_DEP_2)
	v_lshlrev_b64_e32 v[6:7], 2, v[6:7]
	v_cmp_le_i32_e32 vcc_lo, s33, v0
	s_or_b32 s42, vcc_lo, s42
	s_delay_alu instid0(VALU_DEP_2)
	v_add_nc_u64_e32 v[8:9], s[4:5], v[6:7]
	v_add_nc_u64_e32 v[6:7], s[6:7], v[6:7]
	global_store_b64 v[8:9], v[2:3], off
	global_store_b64 v[6:7], v[4:5], off
	s_wait_xcnt 0x0
	s_and_not1_b32 exec_lo, exec_lo, s42
	s_cbranch_execnz .LBB4_95
.LBB4_100:
	s_or_b32 exec_lo, exec_lo, s13
	s_and_saveexec_b32 s1, s3
	s_cbranch_execz .LBB4_108
; %bb.101:
	v_dual_mov_b32 v0, s21 :: v_dual_mov_b32 v5, 0
	s_cmp_gt_i32 s21, 1
	s_cselect_b32 s3, -1, 0
	s_clause 0x2
	global_load_b32 v2, v0, s[14:15] offset:-8 scale_offset
	global_load_b32 v1, v0, s[38:39] offset:-4 scale_offset
	global_load_b32 v3, v5, s[38:39]
	s_cmp_lt_i32 s21, 2
	s_wait_loadcnt 0x2
	v_and_b32_e32 v4, 0x7fffffff, v2
	s_wait_loadcnt 0x1
	s_wait_xcnt 0x1
	s_delay_alu instid0(VALU_DEP_1) | instskip(SKIP_1) | instid1(VALU_DEP_1)
	v_sub_f32_e32 v0, v1, v4
	s_wait_loadcnt 0x0
	v_sub_f32_e32 v6, v3, v0
	s_delay_alu instid0(VALU_DEP_1)
	v_cmp_ge_f32_e32 vcc_lo, s35, v6
	v_cndmask_b32_e64 v2, 0, 1, vcc_lo
	s_cbranch_scc1 .LBB4_104
; %bb.102:
	s_xor_b32 s13, s35, 0x80000000
	s_add_nc_u64 s[10:11], s[22:23], s[26:27]
	v_cmp_lt_f32_e64 s0, s13, v6
	s_add_nc_u64 s[10:11], s[24:25], s[10:11]
	s_mov_b64 s[14:15], s[18:19]
	s_add_nc_u64 s[10:11], s[10:11], 4
	s_mov_b32 s36, s33
	s_and_b32 s0, vcc_lo, s0
	s_delay_alu instid0(SALU_CYCLE_1)
	v_cndmask_b32_e64 v6, v6, s13, s0
.LBB4_103:                              ; =>This Inner Loop Header: Depth=1
	s_clause 0x1
	global_load_b32 v7, v5, s[14:15]
	global_load_b32 v8, v5, s[10:11]
	s_add_co_i32 s36, s36, -1
	s_wait_xcnt 0x0
	s_add_nc_u64 s[10:11], s[10:11], 4
	s_add_nc_u64 s[14:15], s[14:15], 4
	s_wait_loadcnt 0x1
	v_div_scale_f32 v9, null, v6, v6, v7
	v_div_scale_f32 v12, vcc_lo, v7, v6, v7
	s_wait_loadcnt 0x0
	v_sub_f32_e32 v8, v8, v0
	s_delay_alu instid0(VALU_DEP_3)
	v_rcp_f32_e32 v10, v9
	v_nop
	v_xor_b32_e32 v9, 0x80000000, v9
	s_delay_alu instid0(TRANS32_DEP_1) | instid1(VALU_DEP_1)
	v_fma_f32 v11, v9, v10, 1.0
	s_delay_alu instid0(VALU_DEP_1) | instskip(NEXT) | instid1(VALU_DEP_1)
	v_fmac_f32_e32 v10, v11, v10
	v_mul_f32_e32 v11, v12, v10
	s_delay_alu instid0(VALU_DEP_1) | instskip(NEXT) | instid1(VALU_DEP_1)
	v_fma_f32 v13, v9, v11, v12
	v_fmac_f32_e32 v11, v13, v10
	s_delay_alu instid0(VALU_DEP_1) | instskip(NEXT) | instid1(VALU_DEP_1)
	v_fmac_f32_e32 v12, v9, v11
	v_div_fmas_f32 v9, v12, v10, v11
	s_delay_alu instid0(VALU_DEP_1) | instskip(NEXT) | instid1(VALU_DEP_1)
	v_div_fixup_f32 v6, v9, v6, v7
	v_sub_f32_e32 v6, v8, v6
	s_delay_alu instid0(VALU_DEP_1)
	v_cmp_ge_f32_e32 vcc_lo, s35, v6
	v_cmp_lt_f32_e64 s0, s13, v6
	v_add_co_ci_u32_e64 v2, null, 0, v2, vcc_lo
	s_and_b32 s0, vcc_lo, s0
	s_cmp_lg_u32 s36, 0
	v_cndmask_b32_e64 v6, v6, s13, s0
	s_cbranch_scc1 .LBB4_103
.LBB4_104:
	v_add_f32_e32 v1, v1, v4
	s_and_not1_b32 vcc_lo, exec_lo, s3
	s_delay_alu instid0(VALU_DEP_1) | instskip(NEXT) | instid1(VALU_DEP_1)
	v_sub_f32_e32 v4, v3, v1
	v_cmp_ge_f32_e64 s0, s35, v4
	s_delay_alu instid0(VALU_DEP_1)
	v_cndmask_b32_e64 v3, 0, 1, s0
	s_cbranch_vccnz .LBB4_107
; %bb.105:
	s_xor_b32 s3, s35, 0x80000000
	s_add_nc_u64 s[10:11], s[22:23], s[26:27]
	v_cmp_lt_f32_e32 vcc_lo, s3, v4
	s_add_nc_u64 s[10:11], s[24:25], s[10:11]
	s_delay_alu instid0(SALU_CYCLE_1)
	s_add_nc_u64 s[10:11], s[10:11], 4
	s_and_b32 s0, s0, vcc_lo
	s_wait_xcnt 0x0
	v_cndmask_b32_e64 v5, v4, s3, s0
	v_mov_b32_e32 v4, 0
.LBB4_106:                              ; =>This Inner Loop Header: Depth=1
	s_clause 0x1
	global_load_b32 v6, v4, s[18:19]
	global_load_b32 v7, v4, s[10:11]
	s_add_co_i32 s33, s33, -1
	s_wait_xcnt 0x0
	s_add_nc_u64 s[10:11], s[10:11], 4
	s_add_nc_u64 s[18:19], s[18:19], 4
	s_wait_loadcnt 0x1
	v_div_scale_f32 v8, null, v5, v5, v6
	v_div_scale_f32 v11, vcc_lo, v6, v5, v6
	s_wait_loadcnt 0x0
	v_sub_f32_e32 v7, v7, v1
	s_delay_alu instid0(VALU_DEP_3)
	v_rcp_f32_e32 v9, v8
	v_nop
	v_xor_b32_e32 v8, 0x80000000, v8
	s_delay_alu instid0(TRANS32_DEP_1) | instid1(VALU_DEP_1)
	v_fma_f32 v10, v8, v9, 1.0
	s_delay_alu instid0(VALU_DEP_1) | instskip(NEXT) | instid1(VALU_DEP_1)
	v_fmac_f32_e32 v9, v10, v9
	v_mul_f32_e32 v10, v11, v9
	s_delay_alu instid0(VALU_DEP_1) | instskip(NEXT) | instid1(VALU_DEP_1)
	v_fma_f32 v12, v8, v10, v11
	v_fmac_f32_e32 v10, v12, v9
	s_delay_alu instid0(VALU_DEP_1) | instskip(NEXT) | instid1(VALU_DEP_1)
	v_fmac_f32_e32 v11, v8, v10
	v_div_fmas_f32 v8, v11, v9, v10
	s_delay_alu instid0(VALU_DEP_1) | instskip(NEXT) | instid1(VALU_DEP_1)
	v_div_fixup_f32 v5, v8, v5, v6
	v_sub_f32_e32 v5, v7, v5
	s_delay_alu instid0(VALU_DEP_1)
	v_cmp_ge_f32_e32 vcc_lo, s35, v5
	v_cmp_lt_f32_e64 s0, s3, v5
	v_add_co_ci_u32_e64 v3, null, 0, v3, vcc_lo
	s_and_b32 s0, vcc_lo, s0
	s_cmp_lg_u32 s33, 0
	v_cndmask_b32_e64 v5, v5, s3, s0
	s_cbranch_scc1 .LBB4_106
.LBB4_107:
	s_ashr_i32 s13, s12, 31
	v_mov_b32_e32 v4, 0
	s_lshl_b64 s[10:11], s[12:13], 2
	s_delay_alu instid0(SALU_CYCLE_1)
	s_add_nc_u64 s[14:15], s[4:5], s[10:11]
	s_add_nc_u64 s[10:11], s[6:7], s[10:11]
	s_clause 0x1
	global_store_b64 v4, v[0:1], s[14:15] offset:-8
	global_store_b64 v4, v[2:3], s[10:11] offset:-8
.LBB4_108:
	s_wait_xcnt 0x0
	s_or_b32 exec_lo, exec_lo, s1
	s_mov_b32 s13, 0
	s_wait_storecnt 0x0
	s_barrier_signal -1
	s_barrier_wait -1
                                        ; implicit-def: $vgpr2
                                        ; implicit-def: $vgpr1
	s_and_saveexec_b32 s3, s2
	s_cbranch_execz .LBB4_132
; %bb.109:
	s_cmp_gt_i32 s21, 0
	s_mov_b32 s0, 1
	s_cselect_b32 s13, -1, 0
	s_cmp_lt_i32 s21, 1
	s_cbranch_scc1 .LBB4_117
; %bb.110:
	v_mov_b32_e32 v0, 0
	s_cmp_lg_u64 s[40:41], 0
	s_add_nc_u64 s[10:11], s[4:5], 4
	s_cselect_b32 s26, -1, 0
	s_branch .LBB4_112
.LBB4_111:                              ;   in Loop: Header=BB4_112 Depth=1
	s_add_co_i32 s0, s0, 1
	s_add_nc_u64 s[10:11], s[10:11], 4
	s_cmp_lg_u32 s0, s12
	s_cbranch_scc0 .LBB4_117
.LBB4_112:                              ; =>This Loop Header: Depth=1
                                        ;     Child Loop BB4_113 Depth 2
	s_wait_xcnt 0x1
	v_mov_b32_e32 v1, s0
	s_ashr_i32 s1, s0, 31
	s_add_co_i32 s27, s0, -1
	s_wait_xcnt 0x0
	s_lshl_b64 s[14:15], s[0:1], 2
	s_mov_b64 s[24:25], s[10:11]
	global_load_b32 v1, v1, s[4:5] offset:-4 scale_offset
	s_add_nc_u64 s[22:23], s[4:5], s[14:15]
	s_mov_b32 s33, s0
	s_mov_b32 s18, s27
	s_wait_loadcnt 0x0
	v_readfirstlane_b32 s1, v1
	s_mov_b32 s19, s1
.LBB4_113:                              ;   Parent Loop BB4_112 Depth=1
                                        ; =>  This Inner Loop Header: Depth=2
	global_load_b32 v1, v0, s[24:25]
	s_wait_xcnt 0x0
	s_add_nc_u64 s[24:25], s[24:25], 4
	s_wait_loadcnt 0x0
	v_readfirstlane_b32 s36, v1
	s_cmp_lt_f32 s36, s19
	s_cselect_b32 s19, s36, s19
	s_cselect_b32 s18, s33, s18
	s_add_co_i32 s33, s33, 1
	s_delay_alu instid0(SALU_CYCLE_1)
	s_cmp_eq_u32 s12, s33
	s_cbranch_scc0 .LBB4_113
; %bb.114:                              ;   in Loop: Header=BB4_112 Depth=1
	s_cmp_lg_u32 s18, s27
	s_cbranch_scc0 .LBB4_111
; %bb.115:                              ;   in Loop: Header=BB4_112 Depth=1
	v_dual_mov_b32 v1, s18 :: v_dual_mov_b32 v2, s1
	v_mov_b32_e32 v3, s19
	s_and_not1_b32 vcc_lo, exec_lo, s26
	s_clause 0x1
	global_store_b32 v1, v2, s[4:5] scale_offset
	global_store_b32 v0, v3, s[22:23] offset:-4
	s_cbranch_vccnz .LBB4_111
; %bb.116:                              ;   in Loop: Header=BB4_112 Depth=1
	s_ashr_i32 s19, s18, 31
	s_add_nc_u64 s[14:15], s[6:7], s[14:15]
	s_lshl_b64 s[18:19], s[18:19], 2
	s_delay_alu instid0(SALU_CYCLE_1)
	s_add_nc_u64 s[18:19], s[6:7], s[18:19]
	s_clause 0x1
	global_load_b32 v1, v0, s[14:15] offset:-4
	global_load_b32 v2, v0, s[18:19]
	s_wait_loadcnt 0x1
	global_store_b32 v0, v1, s[18:19]
	s_wait_loadcnt 0x0
	global_store_b32 v0, v2, s[14:15] offset:-4
	s_branch .LBB4_111
.LBB4_117:
	s_wait_xcnt 0x0
	v_dual_mov_b32 v1, 0 :: v_dual_mov_b32 v2, s12
	s_cvt_f32_i32 s0, s21
	s_clause 0x1
	global_load_b32 v3, v1, s[4:5]
	global_load_b32 v4, v2, s[4:5] offset:-4 scale_offset
	s_wait_loadcnt 0x1
	v_and_b32_e32 v0, 0x7fffffff, v3
	s_wait_loadcnt 0x0
	v_and_b32_e32 v5, 0x7fffffff, v4
	s_delay_alu instid0(VALU_DEP_1) | instskip(SKIP_2) | instid1(VALU_DEP_1)
	v_cmp_lt_f32_e32 vcc_lo, v0, v5
	v_cndmask_b32_e32 v0, v3, v4, vcc_lo
	s_and_not1_b32 vcc_lo, exec_lo, s13
	v_and_b32_e32 v0, 0x7fffffff, v0
	s_delay_alu instid0(VALU_DEP_1) | instskip(SKIP_1) | instid1(VALU_DEP_2)
	v_mul_f32_e32 v5, s34, v0
	v_cndmask_b32_e64 v0, 0, 1, s13
	v_xor_b32_e32 v6, 0x80000000, v5
	s_delay_alu instid0(VALU_DEP_1) | instskip(NEXT) | instid1(VALU_DEP_1)
	v_fmac_f32_e32 v3, s0, v6
	v_dual_subrev_f32 v3, s35, v3 :: v_dual_fmac_f32 v4, s0, v5
	s_delay_alu instid0(VALU_DEP_1)
	v_add_f32_e32 v4, s35, v4
	s_clause 0x1
	global_store_b32 v1, v3, s[4:5]
	global_store_b32 v2, v4, s[4:5] offset:-4 scale_offset
	s_cbranch_vccnz .LBB4_123
; %bb.118:
	s_max_i32 s11, s12, 2
	s_add_nc_u64 s[0:1], s[6:7], 4
	s_add_co_i32 s11, s11, -1
	s_mov_b32 s13, 0
	s_branch .LBB4_120
.LBB4_119:                              ;   in Loop: Header=BB4_120 Depth=1
	s_add_co_i32 s13, s13, 1
	s_wait_xcnt 0x0
	s_add_nc_u64 s[0:1], s[0:1], 4
	s_cmp_eq_u32 s11, s13
	s_mov_b32 s10, s11
	s_cselect_b32 s14, -1, 0
	s_delay_alu instid0(SALU_CYCLE_1)
	s_and_not1_b32 vcc_lo, exec_lo, s14
	s_cbranch_vccz .LBB4_122
.LBB4_120:                              ; =>This Inner Loop Header: Depth=1
	global_load_b32 v2, v1, s[0:1]
	s_wait_loadcnt 0x0
	v_cmp_le_i32_e32 vcc_lo, s30, v2
	s_cbranch_vccz .LBB4_119
; %bb.121:
	s_mov_b32 s10, s13
                                        ; implicit-def: $sgpr0_sgpr1
.LBB4_122:
	s_mov_b32 s11, 0
	s_branch .LBB4_124
.LBB4_123:
	s_mov_b64 s[10:11], 0
.LBB4_124:
	s_wait_xcnt 0x0
	v_mov_b32_e32 v2, 0
	s_lshl_b64 s[0:1], s[10:11], 2
	v_cmp_ne_u32_e32 vcc_lo, 1, v0
	s_add_nc_u64 s[0:1], s[4:5], s[0:1]
	global_load_b32 v1, v2, s[0:1]
	s_wait_xcnt 0x0
	s_mov_b32 s1, 1
	s_cbranch_vccnz .LBB4_130
; %bb.125:
	s_max_i32 s10, s12, 2
	s_add_nc_u64 s[6:7], s[6:7], 4
	s_add_co_i32 s11, s10, -1
	s_branch .LBB4_127
.LBB4_126:
	s_mov_b32 s0, s1
                                        ; implicit-def: $sgpr6_sgpr7
	s_branch .LBB4_129
.LBB4_127:                              ; =>This Inner Loop Header: Depth=1
	global_load_b32 v0, v2, s[6:7]
	s_wait_loadcnt 0x0
	v_cmp_gt_i32_e32 vcc_lo, s31, v0
	s_cbranch_vccz .LBB4_126
; %bb.128:                              ;   in Loop: Header=BB4_127 Depth=1
	s_add_co_i32 s1, s1, 1
	s_wait_xcnt 0x0
	s_add_nc_u64 s[6:7], s[6:7], 4
	s_cmp_eq_u32 s10, s1
	s_mov_b32 s0, s11
	s_cselect_b32 s12, -1, 0
	s_delay_alu instid0(SALU_CYCLE_1)
	s_and_not1_b32 vcc_lo, exec_lo, s12
	s_cbranch_vccnz .LBB4_127
.LBB4_129:
	s_ashr_i32 s1, s0, 31
	s_branch .LBB4_131
.LBB4_130:
	s_mov_b64 s[0:1], 0
.LBB4_131:
	v_mov_b32_e32 v0, 0
	s_lshl_b64 s[0:1], s[0:1], 2
	s_mov_b32 s13, exec_lo
	s_add_nc_u64 s[0:1], s[4:5], s[0:1]
	global_load_b32 v2, v0, s[0:1]
.LBB4_132:
	s_wait_xcnt 0x0
	s_or_b32 exec_lo, exec_lo, s3
.LBB4_133:
	s_and_saveexec_b32 s0, s13
	s_cbranch_execz .LBB4_136
; %bb.134:
	s_and_b32 exec_lo, exec_lo, s2
	s_cbranch_execz .LBB4_136
; %bb.135:
	s_lshl_b32 s0, s28, 1
	s_lshl_b64 s[2:3], s[28:29], 2
	s_ashr_i32 s1, s0, 31
	v_dual_mov_b32 v0, 0 :: v_dual_mov_b32 v4, s35
	s_lshl_b64 s[0:1], s[0:1], 2
	s_cmp_eq_u32 s20, 0xe7
	s_add_nc_u64 s[2:3], s[16:17], s[2:3]
	s_cselect_b32 s4, -1, 0
	s_wait_kmcnt 0x0
	s_add_nc_u64 s[0:1], s[8:9], s[0:1]
	s_wait_loadcnt 0x0
	v_cndmask_b32_e64 v3, v2, 0, s4
	v_cndmask_b32_e64 v2, v1, 0, s4
	s_clause 0x1
	global_store_b32 v0, v4, s[2:3]
	global_store_b64 v0, v[2:3], s[0:1]
.LBB4_136:
	s_endpgm
	.section	.rodata,"a",@progbits
	.p2align	6, 0x0
	.amdhsa_kernel _ZN9rocsolver6v33100L22stebz_splitting_kernelIfPfEEv15rocblas_erange_iT_S4_iiT0_iiS5_iiPiPS4_lS6_lS6_S7_S7_S7_S7_S6_S4_S4_
		.amdhsa_group_segment_fixed_size 2048
		.amdhsa_private_segment_fixed_size 0
		.amdhsa_kernarg_size 152
		.amdhsa_user_sgpr_count 2
		.amdhsa_user_sgpr_dispatch_ptr 0
		.amdhsa_user_sgpr_queue_ptr 0
		.amdhsa_user_sgpr_kernarg_segment_ptr 1
		.amdhsa_user_sgpr_dispatch_id 0
		.amdhsa_user_sgpr_kernarg_preload_length 0
		.amdhsa_user_sgpr_kernarg_preload_offset 0
		.amdhsa_user_sgpr_private_segment_size 0
		.amdhsa_wavefront_size32 1
		.amdhsa_uses_dynamic_stack 0
		.amdhsa_enable_private_segment 0
		.amdhsa_system_sgpr_workgroup_id_x 1
		.amdhsa_system_sgpr_workgroup_id_y 1
		.amdhsa_system_sgpr_workgroup_id_z 0
		.amdhsa_system_sgpr_workgroup_info 0
		.amdhsa_system_vgpr_workitem_id 0
		.amdhsa_next_free_vgpr 32
		.amdhsa_next_free_sgpr 54
		.amdhsa_named_barrier_count 0
		.amdhsa_reserve_vcc 1
		.amdhsa_float_round_mode_32 0
		.amdhsa_float_round_mode_16_64 0
		.amdhsa_float_denorm_mode_32 3
		.amdhsa_float_denorm_mode_16_64 3
		.amdhsa_fp16_overflow 0
		.amdhsa_memory_ordered 1
		.amdhsa_forward_progress 1
		.amdhsa_inst_pref_size 54
		.amdhsa_round_robin_scheduling 0
		.amdhsa_exception_fp_ieee_invalid_op 0
		.amdhsa_exception_fp_denorm_src 0
		.amdhsa_exception_fp_ieee_div_zero 0
		.amdhsa_exception_fp_ieee_overflow 0
		.amdhsa_exception_fp_ieee_underflow 0
		.amdhsa_exception_fp_ieee_inexact 0
		.amdhsa_exception_int_div_zero 0
	.end_amdhsa_kernel
	.section	.text._ZN9rocsolver6v33100L22stebz_splitting_kernelIfPfEEv15rocblas_erange_iT_S4_iiT0_iiS5_iiPiPS4_lS6_lS6_S7_S7_S7_S7_S6_S4_S4_,"axG",@progbits,_ZN9rocsolver6v33100L22stebz_splitting_kernelIfPfEEv15rocblas_erange_iT_S4_iiT0_iiS5_iiPiPS4_lS6_lS6_S7_S7_S7_S7_S6_S4_S4_,comdat
.Lfunc_end4:
	.size	_ZN9rocsolver6v33100L22stebz_splitting_kernelIfPfEEv15rocblas_erange_iT_S4_iiT0_iiS5_iiPiPS4_lS6_lS6_S7_S7_S7_S7_S6_S4_S4_, .Lfunc_end4-_ZN9rocsolver6v33100L22stebz_splitting_kernelIfPfEEv15rocblas_erange_iT_S4_iiT0_iiS5_iiPiPS4_lS6_lS6_S7_S7_S7_S7_S6_S4_S4_
                                        ; -- End function
	.set _ZN9rocsolver6v33100L22stebz_splitting_kernelIfPfEEv15rocblas_erange_iT_S4_iiT0_iiS5_iiPiPS4_lS6_lS6_S7_S7_S7_S7_S6_S4_S4_.num_vgpr, 32
	.set _ZN9rocsolver6v33100L22stebz_splitting_kernelIfPfEEv15rocblas_erange_iT_S4_iiT0_iiS5_iiPiPS4_lS6_lS6_S7_S7_S7_S7_S6_S4_S4_.num_agpr, 0
	.set _ZN9rocsolver6v33100L22stebz_splitting_kernelIfPfEEv15rocblas_erange_iT_S4_iiT0_iiS5_iiPiPS4_lS6_lS6_S7_S7_S7_S7_S6_S4_S4_.numbered_sgpr, 54
	.set _ZN9rocsolver6v33100L22stebz_splitting_kernelIfPfEEv15rocblas_erange_iT_S4_iiT0_iiS5_iiPiPS4_lS6_lS6_S7_S7_S7_S7_S6_S4_S4_.num_named_barrier, 0
	.set _ZN9rocsolver6v33100L22stebz_splitting_kernelIfPfEEv15rocblas_erange_iT_S4_iiT0_iiS5_iiPiPS4_lS6_lS6_S7_S7_S7_S7_S6_S4_S4_.private_seg_size, 0
	.set _ZN9rocsolver6v33100L22stebz_splitting_kernelIfPfEEv15rocblas_erange_iT_S4_iiT0_iiS5_iiPiPS4_lS6_lS6_S7_S7_S7_S7_S6_S4_S4_.uses_vcc, 1
	.set _ZN9rocsolver6v33100L22stebz_splitting_kernelIfPfEEv15rocblas_erange_iT_S4_iiT0_iiS5_iiPiPS4_lS6_lS6_S7_S7_S7_S7_S6_S4_S4_.uses_flat_scratch, 0
	.set _ZN9rocsolver6v33100L22stebz_splitting_kernelIfPfEEv15rocblas_erange_iT_S4_iiT0_iiS5_iiPiPS4_lS6_lS6_S7_S7_S7_S7_S6_S4_S4_.has_dyn_sized_stack, 0
	.set _ZN9rocsolver6v33100L22stebz_splitting_kernelIfPfEEv15rocblas_erange_iT_S4_iiT0_iiS5_iiPiPS4_lS6_lS6_S7_S7_S7_S7_S6_S4_S4_.has_recursion, 0
	.set _ZN9rocsolver6v33100L22stebz_splitting_kernelIfPfEEv15rocblas_erange_iT_S4_iiT0_iiS5_iiPiPS4_lS6_lS6_S7_S7_S7_S7_S6_S4_S4_.has_indirect_call, 0
	.section	.AMDGPU.csdata,"",@progbits
; Kernel info:
; codeLenInByte = 6828
; TotalNumSgprs: 56
; NumVgprs: 32
; ScratchSize: 0
; MemoryBound: 0
; FloatMode: 240
; IeeeMode: 1
; LDSByteSize: 2048 bytes/workgroup (compile time only)
; SGPRBlocks: 0
; VGPRBlocks: 1
; NumSGPRsForWavesPerEU: 56
; NumVGPRsForWavesPerEU: 32
; NamedBarCnt: 0
; Occupancy: 16
; WaveLimiterHint : 1
; COMPUTE_PGM_RSRC2:SCRATCH_EN: 0
; COMPUTE_PGM_RSRC2:USER_SGPR: 2
; COMPUTE_PGM_RSRC2:TRAP_HANDLER: 0
; COMPUTE_PGM_RSRC2:TGID_X_EN: 1
; COMPUTE_PGM_RSRC2:TGID_Y_EN: 1
; COMPUTE_PGM_RSRC2:TGID_Z_EN: 0
; COMPUTE_PGM_RSRC2:TIDIG_COMP_CNT: 0
	.section	.text._ZN9rocsolver6v33100L22stebz_bisection_kernelIfPfEEv15rocblas_erange_iT_T0_iiS5_iiPiPS4_lS6_lS6_lS6_S6_S7_S7_S7_S7_S6_S4_S4_,"axG",@progbits,_ZN9rocsolver6v33100L22stebz_bisection_kernelIfPfEEv15rocblas_erange_iT_T0_iiS5_iiPiPS4_lS6_lS6_lS6_S6_S7_S7_S7_S7_S6_S4_S4_,comdat
	.globl	_ZN9rocsolver6v33100L22stebz_bisection_kernelIfPfEEv15rocblas_erange_iT_T0_iiS5_iiPiPS4_lS6_lS6_lS6_S6_S7_S7_S7_S7_S6_S4_S4_ ; -- Begin function _ZN9rocsolver6v33100L22stebz_bisection_kernelIfPfEEv15rocblas_erange_iT_T0_iiS5_iiPiPS4_lS6_lS6_lS6_S6_S7_S7_S7_S7_S6_S4_S4_
	.p2align	8
	.type	_ZN9rocsolver6v33100L22stebz_bisection_kernelIfPfEEv15rocblas_erange_iT_T0_iiS5_iiPiPS4_lS6_lS6_lS6_S6_S7_S7_S7_S7_S6_S4_S4_,@function
_ZN9rocsolver6v33100L22stebz_bisection_kernelIfPfEEv15rocblas_erange_iT_T0_iiS5_iiPiPS4_lS6_lS6_lS6_S6_S7_S7_S7_S7_S6_S4_S4_: ; @_ZN9rocsolver6v33100L22stebz_bisection_kernelIfPfEEv15rocblas_erange_iT_T0_iiS5_iiPiPS4_lS6_lS6_lS6_S6_S7_S7_S7_S7_S6_S4_S4_
; %bb.0:
	s_load_b512 s[4:19], s[0:1], 0x30
	s_bfe_u32 s2, ttmp6, 0x4000c
	s_bfe_u32 s20, ttmp6, 0x40010
	s_add_co_i32 s2, s2, 1
	s_and_b32 s3, ttmp6, 15
	s_mul_i32 s2, ttmp9, s2
	s_add_co_i32 s20, s20, 1
	s_add_co_i32 s3, s3, s2
	s_mul_i32 s2, ttmp7, s20
	s_bfe_u32 s20, ttmp6, 0x40004
	s_getreg_b32 s21, hwreg(HW_REG_IB_STS2, 6, 4)
	s_add_co_i32 s20, s20, s2
	s_cmp_eq_u32 s21, 0
	s_cselect_b32 s44, ttmp7, s20
	s_cselect_b32 s34, ttmp9, s3
	s_ashr_i32 s45, s44, 31
	s_delay_alu instid0(SALU_CYCLE_1)
	s_lshl_b64 s[2:3], s[44:45], 2
	s_wait_kmcnt 0x0
	s_add_nc_u64 s[4:5], s[4:5], s[2:3]
	s_load_b32 s31, s[4:5], 0x0
	s_wait_kmcnt 0x0
	s_cmp_ge_i32 s34, s31
	s_cbranch_scc1 .LBB5_96
; %bb.1:
	s_clause 0x2
	s_load_b256 s[20:27], s[0:1], 0x10
	s_load_b96 s[28:30], s[0:1], 0x0
	s_load_b256 s[36:43], s[0:1], 0x70
	s_mul_u64 s[4:5], s[8:9], s[44:45]
	s_mul_u64 s[8:9], s[12:13], s[44:45]
	;; [unrolled: 1-line block ×3, first 2 shown]
	s_lshl_b64 s[48:49], s[8:9], 2
	s_lshl_b64 s[4:5], s[4:5], 2
	v_dual_mov_b32 v15, 0 :: v_dual_lshlrev_b32 v12, 4, v0
	v_and_b32_e32 v13, 0x7c, v0
	s_add_nc_u64 s[10:11], s[10:11], s[48:49]
	v_lshl_or_b32 v1, v0, 2, 0x1000
	s_delay_alu instid0(VALU_DEP_3)
	v_or_b32_e32 v14, 0x800, v12
	v_mov_b32_e32 v16, 1
                                        ; implicit-def: $sgpr65
                                        ; implicit-def: $sgpr66
                                        ; implicit-def: $sgpr67
                                        ; implicit-def: $sgpr68
                                        ; implicit-def: $vgpr17
	s_wait_kmcnt 0x0
	s_ashr_i32 s9, s22, 31
	s_mov_b32 s8, s22
	s_ashr_i32 s47, s27, 31
	s_mov_b32 s46, s27
	;; [unrolled: 2-line block ×4, first 2 shown]
	s_add_nc_u64 s[26:27], s[38:39], s[2:3]
	s_lshl_b64 s[38:39], s[8:9], 2
	s_mul_u64 s[8:9], s[46:47], s[44:45]
	s_add_co_i32 s33, s29, -1
	s_lshl_b64 s[54:55], s[8:9], 2
	s_load_b32 s8, s[26:27], 0x0
	s_mul_u64 s[16:17], s[16:17], s[44:45]
	s_lshl_b64 s[50:51], s[22:23], 2
	s_mul_i32 s22, s33, s44
	s_lshl_b64 s[52:53], s[16:17], 2
	s_ashr_i32 s23, s22, 31
	s_mul_i32 s16, s29, s44
	s_wait_xcnt 0x0
	s_lshl_b64 s[26:27], s[12:13], 2
	s_lshl_b64 s[56:57], s[22:23], 2
	s_lshl_b32 s12, s44, 1
	s_lshl_b32 s22, s16, 2
	s_ashr_i32 s13, s12, 31
	s_ashr_i32 s23, s22, 31
	;; [unrolled: 1-line block ×3, first 2 shown]
	s_lshl_b64 s[58:59], s[12:13], 2
	s_lshl_b64 s[60:61], s[22:23], 2
	;; [unrolled: 1-line block ×3, first 2 shown]
	s_cmp_lt_f32 s30, 0
	s_load_b128 s[44:47], s[0:1], 0x90
	s_add_nc_u64 s[12:13], s[18:19], s[2:3]
	s_add_nc_u64 s[16:17], s[6:7], s[4:5]
	s_cselect_b32 s33, -1, 0
	s_cmp_lg_u32 s28, 0xe7
	s_load_b32 s28, s[0:1], 0xa0
	s_cselect_b32 s62, -1, 0
	s_wait_kmcnt 0x0
	s_cmp_lt_f32 s8, 0x800000
	s_add_nc_u64 s[4:5], s[20:21], s[52:53]
	s_add_nc_u64 s[14:15], s[14:15], s[26:27]
	;; [unrolled: 1-line block ×3, first 2 shown]
	s_cselect_b32 s1, 0x4f800000, 1.0
	s_cselect_b32 s35, 0x41b17218, 0
	s_mul_f32 s2, s8, s1
	s_add_nc_u64 s[22:23], s[36:37], s[22:23]
	s_add_nc_u64 s[48:49], s[52:53], s[38:39]
	v_cmp_eq_u32_e64 s0, 0, v0
	v_s_log_f32 s3, s2
	v_cmp_ne_u32_e64 s1, 0, v0
	v_cmp_lt_u32_e64 s2, 3, v0
	s_add_nc_u64 s[18:19], s[42:43], s[58:59]
	s_add_nc_u64 s[38:39], s[40:41], s[56:57]
	;; [unrolled: 1-line block ×4, first 2 shown]
	s_delay_alu instid0(TRANS32_DEP_1) | instskip(SKIP_2) | instid1(SALU_CYCLE_1)
	s_mul_f32 s6, s3, 0x3f317217
	s_and_b32 s5, s3, 0x7fffffff
	s_add_f32 s63, s28, s28
	s_xor_b32 s9, s6, 0x80000000
	s_cmp_lt_f32 s5, 0x7f800000
	s_fmamk_f32 s9, s3, 0x3f317217, s9
	s_add_nc_u64 s[6:7], s[24:25], s[54:55]
	s_delay_alu instid0(SALU_CYCLE_1) | instskip(NEXT) | instid1(SALU_CYCLE_1)
	s_add_nc_u64 s[36:37], s[6:7], s[50:51]
	s_fmamk_f32 s4, s3, 0x3377d1cf, s9
	s_add_nc_u64 s[6:7], s[54:55], s[50:51]
	s_mov_b32 s9, s8
	s_add_nc_u64 s[6:7], s[24:25], s[6:7]
	s_fmamk_f32 s4, s3, 0x3f317217, s4
	s_add_nc_u64 s[44:45], s[6:7], 4
	s_delay_alu instid0(SALU_CYCLE_2)
	s_cselect_b32 s3, s4, s3
	s_add_nc_u64 s[4:5], s[20:21], s[48:49]
	s_sub_f32 s64, s3, s35
	v_cmp_ne_u32_e64 s3, v0, v13
	s_mov_b64 s[20:21], 0x3fe62e42fefa39ef
	s_add_nc_u64 s[24:25], s[4:5], 4
	s_branch .LBB5_4
.LBB5_2:                                ;   in Loop: Header=BB5_4 Depth=1
	s_wait_xcnt 0x0
	s_or_b32 exec_lo, exec_lo, s4
	v_mov_b32_e32 v5, v17
	s_mov_b32 s59, s68
	s_mov_b32 s35, s67
	s_mov_b32 s60, s66
	s_mov_b32 s58, s65
.LBB5_3:                                ;   in Loop: Header=BB5_4 Depth=1
	v_mov_b32_e32 v17, v5
	s_add_co_i32 s34, s34, 64
	s_mov_b32 s65, s58
	s_cmp_lt_i32 s34, s31
	s_mov_b32 s66, s60
	s_mov_b32 s67, s35
	;; [unrolled: 1-line block ×3, first 2 shown]
	s_wait_loadcnt 0x0
	s_wait_storecnt 0x0
	s_barrier_signal -1
	s_barrier_wait -1
	s_cbranch_scc0 .LBB5_96
.LBB5_4:                                ; =>This Loop Header: Depth=1
                                        ;     Child Loop BB5_9 Depth 2
                                        ;     Child Loop BB5_20 Depth 2
	;; [unrolled: 1-line block ×4, first 2 shown]
                                        ;       Child Loop BB5_37 Depth 3
                                        ;         Child Loop BB5_40 Depth 4
                                        ;         Child Loop BB5_54 Depth 4
	;; [unrolled: 1-line block ×3, first 2 shown]
                                        ;     Child Loop BB5_75 Depth 2
                                        ;       Child Loop BB5_78 Depth 3
                                        ;       Child Loop BB5_82 Depth 3
	s_ashr_i32 s35, s34, 31
	s_cmp_eq_u32 s34, 0
	s_mov_b32 s46, 0
	s_cbranch_scc1 .LBB5_6
; %bb.5:                                ;   in Loop: Header=BB5_4 Depth=1
	s_lshl_b64 s[4:5], s[34:35], 2
	s_delay_alu instid0(SALU_CYCLE_1)
	s_add_nc_u64 s[4:5], s[14:15], s[4:5]
	global_load_b32 v2, v15, s[4:5] offset:-4
	s_wait_loadcnt 0x0
	v_readfirstlane_b32 s46, v2
.LBB5_6:                                ;   in Loop: Header=BB5_4 Depth=1
	s_lshl_b64 s[48:49], s[34:35], 2
	s_delay_alu instid0(SALU_CYCLE_1) | instskip(SKIP_4) | instid1(VALU_DEP_2)
	s_add_nc_u64 s[4:5], s[14:15], s[48:49]
	global_load_b32 v3, v15, s[4:5]
	s_wait_loadcnt 0x0
	v_subrev_nc_u32_e32 v2, s46, v3
	v_readfirstlane_b32 s71, v3
	v_cmp_ne_u32_e32 vcc_lo, 1, v2
	s_cbranch_vccz .LBB5_69
; %bb.7:                                ;   in Loop: Header=BB5_4 Depth=1
	v_mov_b32_e32 v3, s46
	v_cmp_gt_i32_e32 vcc_lo, 3, v2
	s_ashr_i32 s47, s46, 31
	s_clause 0x1
	global_load_b32 v4, v3, s[36:37] scale_offset
	global_load_b32 v5, v3, s[26:27] scale_offset
	s_lshl_b64 s[6:7], s[46:47], 2
	s_and_b32 vcc_lo, exec_lo, vcc_lo
	s_add_nc_u64 s[50:51], s[24:25], s[6:7]
	s_wait_loadcnt 0x1
	v_readfirstlane_b32 s4, v4
	s_wait_loadcnt 0x0
	v_readfirstlane_b32 s70, v5
	s_and_b32 s55, s4, 0x7fffffff
	s_delay_alu instid0(SALU_CYCLE_1)
	s_sub_f32 s54, s70, s55
	s_add_f32 s35, s70, s55
	s_cbranch_vccnz .LBB5_10
; %bb.8:                                ;   in Loop: Header=BB5_4 Depth=1
	s_sub_co_i32 s52, s71, s46
	s_add_nc_u64 s[4:5], s[24:25], s[6:7]
	s_add_co_i32 s56, s52, -2
	s_add_nc_u64 s[52:53], s[44:45], s[6:7]
.LBB5_9:                                ;   Parent Loop BB5_4 Depth=1
                                        ; =>  This Inner Loop Header: Depth=2
	s_clause 0x1
	global_load_b32 v3, v15, s[4:5]
	global_load_b32 v4, v15, s[52:53]
	s_mov_b32 s57, s55
	s_wait_xcnt 0x1
	s_add_nc_u64 s[4:5], s[4:5], 4
	s_wait_xcnt 0x0
	s_add_nc_u64 s[52:53], s[52:53], 4
	s_wait_loadcnt 0x1
	v_readfirstlane_b32 s58, v3
	s_wait_loadcnt 0x0
	v_readfirstlane_b32 s55, v4
	s_sub_f32 s59, s58, s57
	s_bitset0_b32 s55, 31
	s_add_f32 s57, s57, s58
	s_delay_alu instid0(SALU_CYCLE_1) | instskip(NEXT) | instid1(SALU_CYCLE_2)
	s_sub_f32 s58, s59, s55
	s_add_f32 s57, s57, s55
	s_delay_alu instid0(SALU_CYCLE_2) | instskip(SKIP_1) | instid1(SALU_CYCLE_1)
	s_cmp_lt_f32 s58, s54
	s_cselect_b32 s54, s58, s54
	s_cmp_lt_f32 s35, s57
	s_cselect_b32 s35, s57, s35
	s_add_co_i32 s56, s56, -1
	s_delay_alu instid0(SALU_CYCLE_1)
	s_cmp_lg_u32 s56, 0
	s_cbranch_scc1 .LBB5_9
.LBB5_10:                               ;   in Loop: Header=BB5_4 Depth=1
	s_add_nc_u64 s[52:53], s[26:27], s[6:7]
	v_mov_b64_e32 v[4:5], s[8:9]
	global_load_b32 v3, v2, s[52:53] offset:-4 scale_offset
	s_wait_loadcnt 0x0
	v_readfirstlane_b32 s4, v3
	v_cvt_f32_i32_e32 v3, v2
	s_sub_f32 s5, s4, s55
	s_add_f32 s4, s55, s4
	s_delay_alu instid0(SALU_CYCLE_2) | instskip(SKIP_1) | instid1(SALU_CYCLE_1)
	s_cmp_lt_f32 s5, s54
	s_cselect_b32 s5, s5, s54
	s_cmp_lt_f32 s35, s4
	s_cselect_b32 s4, s4, s35
	s_and_b32 s35, s5, 0x7fffffff
	s_and_b32 s54, s4, 0x7fffffff
	s_delay_alu instid0(SALU_CYCLE_1) | instskip(SKIP_3) | instid1(SALU_CYCLE_1)
	s_cmp_lt_f32 s35, s54
	s_cselect_b32 s35, s4, s5
	s_and_not1_b32 vcc_lo, exec_lo, s62
	s_bitset0_b32 s35, 31
	s_mul_f32 s69, s28, s35
	s_delay_alu instid0(SALU_CYCLE_3) | instskip(SKIP_2) | instid1(VALU_DEP_1)
	s_xor_b32 s35, s69, 0x80000000
	v_fma_f32 v7, s69, v3, s4
	v_fma_f32 v6, s35, v3, s5
	v_pk_add_f32 v[8:9], v[6:7], v[4:5] neg_lo:[0,1] neg_hi:[0,1]
	v_pk_add_f32 v[4:5], v[6:7], v[4:5]
	s_delay_alu instid0(VALU_DEP_2) | instskip(NEXT) | instid1(VALU_DEP_2)
	v_readfirstlane_b32 s54, v8
	v_readfirstlane_b32 s55, v5
	s_cbranch_vccnz .LBB5_12
; %bb.11:                               ;   in Loop: Header=BB5_4 Depth=1
	global_load_b64 v[4:5], v15, s[18:19]
	s_wait_loadcnt 0x0
	v_readfirstlane_b32 s4, v4
	v_readfirstlane_b32 s5, v5
	s_cmp_lt_f32 s54, s4
	s_cselect_b32 s54, s4, s54
	s_cmp_lt_f32 s5, s55
	s_cselect_b32 s55, s5, s55
.LBB5_12:                               ;   in Loop: Header=BB5_4 Depth=1
	s_delay_alu instid0(SALU_CYCLE_1)
	s_cmp_nlt_f32 s54, s55
	s_mov_b32 s4, -1
	s_cbranch_scc0 .LBB5_16
; %bb.13:                               ;   in Loop: Header=BB5_4 Depth=1
	s_and_saveexec_b32 s4, s0
	s_cbranch_execz .LBB5_15
; %bb.14:                               ;   in Loop: Header=BB5_4 Depth=1
	s_add_nc_u64 s[56:57], s[22:23], s[48:49]
	ds_store_b16 v15, v15 offset:4612
	global_store_b32 v15, v15, s[56:57]
.LBB5_15:                               ;   in Loop: Header=BB5_4 Depth=1
	s_wait_xcnt 0x0
	s_or_b32 exec_lo, exec_lo, s4
	s_mov_b32 s4, 0
.LBB5_16:                               ;   in Loop: Header=BB5_4 Depth=1
	v_mov_b32_e32 v5, v17
	s_mov_b32 s59, s68
	s_and_not1_b32 vcc_lo, exec_lo, s4
	s_mov_b32 s35, s67
	s_mov_b32 s58, s65
	s_cbranch_vccnz .LBB5_29
; %bb.17:                               ;   in Loop: Header=BB5_4 Depth=1
	s_sub_f32 s4, s55, s54
	s_delay_alu instid0(SALU_CYCLE_3) | instskip(NEXT) | instid1(SALU_CYCLE_3)
	s_add_f32 s4, s8, s4
	s_cmp_lt_f32 s4, 0x800000
	s_cselect_b32 s5, 0x4f800000, 1.0
	s_cselect_b32 s35, 0x41b17218, 0
	s_mul_f32 s4, s4, s5
	s_delay_alu instid0(SALU_CYCLE_3) | instskip(NEXT) | instid1(TRANS32_DEP_1)
	v_s_log_f32 s4, s4
	s_mul_f32 s5, s4, 0x3f317217
	s_and_b32 s56, s4, 0x7fffffff
	s_delay_alu instid0(SALU_CYCLE_2) | instskip(SKIP_2) | instid1(SALU_CYCLE_3)
	s_xor_b32 s5, s5, 0x80000000
	s_cmp_lt_f32 s56, 0x7f800000
	s_fmamk_f32 s5, s4, 0x3f317217, s5
	s_fmamk_f32 s5, s4, 0x3377d1cf, s5
	s_delay_alu instid0(SALU_CYCLE_3) | instskip(NEXT) | instid1(SALU_CYCLE_3)
	s_fmamk_f32 s5, s4, 0x3f317217, s5
	s_cselect_b32 s4, s5, s4
	s_delay_alu instid0(SALU_CYCLE_1) | instskip(NEXT) | instid1(SALU_CYCLE_3)
	s_sub_f32 s4, s4, s35
	s_sub_f32 s4, s4, s64
	v_nop
	s_delay_alu instid0(SALU_CYCLE_2) | instskip(NEXT) | instid1(VALU_DEP_1)
	v_cvt_f64_f32_e32 v[4:5], s4
	v_div_scale_f64 v[6:7], null, s[20:21], s[20:21], v[4:5]
	v_div_scale_f64 v[18:19], vcc_lo, v[4:5], s[20:21], v[4:5]
	s_delay_alu instid0(VALU_DEP_2) | instskip(SKIP_1) | instid1(TRANS32_DEP_1)
	v_rcp_f64_e32 v[8:9], v[6:7]
	v_nop
	v_fma_f64 v[10:11], -v[6:7], v[8:9], 1.0
	s_delay_alu instid0(VALU_DEP_1) | instskip(NEXT) | instid1(VALU_DEP_1)
	v_fmac_f64_e32 v[8:9], v[8:9], v[10:11]
	v_fma_f64 v[10:11], -v[6:7], v[8:9], 1.0
	s_delay_alu instid0(VALU_DEP_1) | instskip(NEXT) | instid1(VALU_DEP_1)
	v_fmac_f64_e32 v[8:9], v[8:9], v[10:11]
	v_mul_f64_e32 v[10:11], v[18:19], v[8:9]
	s_delay_alu instid0(VALU_DEP_1) | instskip(NEXT) | instid1(VALU_DEP_1)
	v_fma_f64 v[6:7], -v[6:7], v[10:11], v[18:19]
	v_div_fmas_f64 v[6:7], v[6:7], v[8:9], v[10:11]
	s_delay_alu instid0(VALU_DEP_1) | instskip(NEXT) | instid1(VALU_DEP_1)
	v_div_fixup_f64 v[4:5], v[6:7], s[20:21], v[4:5]
	v_cvt_i32_f64_e32 v3, v[4:5]
	v_mov_b32_e32 v5, v17
	s_delay_alu instid0(VALU_DEP_2)
	v_readfirstlane_b32 s35, v3
	s_and_saveexec_b32 s72, s0
	s_cbranch_execz .LBB5_28
; %bb.18:                               ;   in Loop: Header=BB5_4 Depth=1
	s_sub_f32 s5, s70, s54
	v_cmp_gt_i32_e32 vcc_lo, 2, v2
	v_cmp_lt_i32_e64 s4, 1, v2
	s_add_nc_u64 s[56:57], s[38:39], s[6:7]
	s_cmp_le_f32 s5, s8
	ds_store_b8 v15, v15 offset:4613
	s_cselect_b32 s58, -1, 0
	s_delay_alu instid0(SALU_CYCLE_1)
	v_cndmask_b32_e64 v4, 0, 1, s58
	s_cbranch_vccnz .LBB5_21
; %bb.19:                               ;   in Loop: Header=BB5_4 Depth=1
	s_xor_b32 s73, s8, 0x80000000
	s_mov_b64 s[60:61], s[56:57]
	s_cmp_gt_f32 s5, s73
	s_cselect_b32 s59, -1, 0
	s_delay_alu instid0(SALU_CYCLE_1) | instskip(NEXT) | instid1(SALU_CYCLE_1)
	s_and_b32 s58, s58, s59
	s_and_b32 s58, s58, exec_lo
	s_cselect_b32 s5, s73, s5
	s_not_b32 s58, s46
	v_mov_b32_e32 v3, s5
	s_add_co_i32 s74, s58, s71
	s_add_nc_u64 s[58:59], s[24:25], s[6:7]
.LBB5_20:                               ;   Parent Loop BB5_4 Depth=1
                                        ; =>  This Inner Loop Header: Depth=2
	s_clause 0x1
	global_load_b32 v5, v15, s[60:61]
	global_load_b32 v6, v15, s[58:59]
	s_add_co_i32 s74, s74, -1
	s_wait_xcnt 0x0
	s_add_nc_u64 s[58:59], s[58:59], 4
	s_add_nc_u64 s[60:61], s[60:61], 4
	s_wait_loadcnt 0x1
	v_div_scale_f32 v7, null, v3, v3, v5
	v_div_scale_f32 v10, vcc_lo, v5, v3, v5
	s_wait_loadcnt 0x0
	v_subrev_f32_e32 v6, s54, v6
	s_delay_alu instid0(VALU_DEP_3)
	v_rcp_f32_e32 v8, v7
	v_nop
	v_xor_b32_e32 v7, 0x80000000, v7
	s_delay_alu instid0(TRANS32_DEP_1) | instid1(VALU_DEP_1)
	v_fma_f32 v9, v7, v8, 1.0
	s_delay_alu instid0(VALU_DEP_1) | instskip(NEXT) | instid1(VALU_DEP_1)
	v_fmac_f32_e32 v8, v9, v8
	v_mul_f32_e32 v9, v10, v8
	s_delay_alu instid0(VALU_DEP_1) | instskip(NEXT) | instid1(VALU_DEP_1)
	v_fma_f32 v11, v7, v9, v10
	v_fmac_f32_e32 v9, v11, v8
	s_delay_alu instid0(VALU_DEP_1) | instskip(NEXT) | instid1(VALU_DEP_1)
	v_fmac_f32_e32 v10, v7, v9
	v_div_fmas_f32 v7, v10, v8, v9
	s_delay_alu instid0(VALU_DEP_1) | instskip(NEXT) | instid1(VALU_DEP_1)
	v_div_fixup_f32 v3, v7, v3, v5
	v_sub_f32_e32 v3, v6, v3
	s_delay_alu instid0(VALU_DEP_1)
	v_cmp_ge_f32_e32 vcc_lo, s8, v3
	v_cmp_lt_f32_e64 s5, s73, v3
	v_add_co_ci_u32_e64 v4, null, 0, v4, vcc_lo
	s_and_b32 s5, vcc_lo, s5
	s_cmp_lg_u32 s74, 0
	v_cndmask_b32_e64 v3, v3, s73, s5
	s_cbranch_scc1 .LBB5_20
.LBB5_21:                               ;   in Loop: Header=BB5_4 Depth=1
	s_sub_f32 s58, s70, s55
	s_delay_alu instid0(SALU_CYCLE_3)
	s_cmp_le_f32 s58, s8
	s_cselect_b32 s59, -1, 0
	s_and_not1_b32 vcc_lo, exec_lo, s4
	v_cndmask_b32_e64 v5, 0, 1, s59
	s_cbranch_vccnz .LBB5_24
; %bb.22:                               ;   in Loop: Header=BB5_4 Depth=1
	s_xor_b32 s5, s8, 0x80000000
	s_delay_alu instid0(SALU_CYCLE_1) | instskip(SKIP_1) | instid1(SALU_CYCLE_1)
	s_cmp_gt_f32 s58, s5
	s_cselect_b32 s4, -1, 0
	s_and_b32 s4, s59, s4
	s_delay_alu instid0(SALU_CYCLE_1)
	s_and_b32 s4, s4, exec_lo
	s_cselect_b32 s4, s5, s58
	s_not_b32 s58, s46
	v_mov_b32_e32 v3, s4
	s_add_co_i32 s60, s58, s71
	s_add_nc_u64 s[58:59], s[24:25], s[6:7]
.LBB5_23:                               ;   Parent Loop BB5_4 Depth=1
                                        ; =>  This Inner Loop Header: Depth=2
	s_clause 0x1
	global_load_b32 v6, v15, s[56:57]
	global_load_b32 v7, v15, s[58:59]
	s_add_co_i32 s60, s60, -1
	s_wait_xcnt 0x0
	s_add_nc_u64 s[58:59], s[58:59], 4
	s_add_nc_u64 s[56:57], s[56:57], 4
	s_wait_loadcnt 0x1
	v_div_scale_f32 v8, null, v3, v3, v6
	v_div_scale_f32 v11, vcc_lo, v6, v3, v6
	s_wait_loadcnt 0x0
	v_subrev_f32_e32 v7, s55, v7
	s_delay_alu instid0(VALU_DEP_3)
	v_rcp_f32_e32 v9, v8
	v_nop
	v_xor_b32_e32 v8, 0x80000000, v8
	s_delay_alu instid0(TRANS32_DEP_1) | instid1(VALU_DEP_1)
	v_fma_f32 v10, v8, v9, 1.0
	s_delay_alu instid0(VALU_DEP_1) | instskip(NEXT) | instid1(VALU_DEP_1)
	v_fmac_f32_e32 v9, v10, v9
	v_mul_f32_e32 v10, v11, v9
	s_delay_alu instid0(VALU_DEP_1) | instskip(NEXT) | instid1(VALU_DEP_1)
	v_fma_f32 v18, v8, v10, v11
	v_fmac_f32_e32 v10, v18, v9
	s_delay_alu instid0(VALU_DEP_1) | instskip(NEXT) | instid1(VALU_DEP_1)
	v_fmac_f32_e32 v11, v8, v10
	v_div_fmas_f32 v8, v11, v9, v10
	s_delay_alu instid0(VALU_DEP_1) | instskip(NEXT) | instid1(VALU_DEP_1)
	v_div_fixup_f32 v3, v8, v3, v6
	v_sub_f32_e32 v3, v7, v3
	s_delay_alu instid0(VALU_DEP_1)
	v_cmp_ge_f32_e32 vcc_lo, s8, v3
	v_cmp_lt_f32_e64 s4, s5, v3
	v_add_co_ci_u32_e64 v5, null, 0, v5, vcc_lo
	s_and_b32 s4, vcc_lo, s4
	s_cmp_lg_u32 s60, 0
	v_cndmask_b32_e64 v3, v3, s5, s4
	s_cbranch_scc1 .LBB5_23
.LBB5_24:                               ;   in Loop: Header=BB5_4 Depth=1
	s_delay_alu instid0(VALU_DEP_1) | instskip(SKIP_1) | instid1(VALU_DEP_1)
	v_sub_nc_u32_e32 v3, v5, v4
	s_mov_b32 s4, -1
	v_cmp_gt_i32_e32 vcc_lo, 1, v3
	s_cbranch_vccz .LBB5_26
; %bb.25:                               ;   in Loop: Header=BB5_4 Depth=1
	s_add_nc_u64 s[56:57], s[22:23], s[48:49]
	s_mov_b32 s4, 0
	ds_store_b8 v15, v15 offset:4612
	global_store_b32 v15, v15, s[56:57]
.LBB5_26:                               ;   in Loop: Header=BB5_4 Depth=1
	s_and_not1_b32 vcc_lo, exec_lo, s4
	s_cbranch_vccnz .LBB5_28
; %bb.27:                               ;   in Loop: Header=BB5_4 Depth=1
	s_add_co_i32 s4, s46, s29
	v_mov_b64_e32 v[6:7], s[54:55]
	s_lshl_b32 s4, s4, 1
	s_add_nc_u64 s[54:55], s[22:23], s[48:49]
	s_ashr_i32 s5, s4, 31
	ds_store_b8 v15, v16 offset:4612
	s_lshl_b64 s[4:5], s[4:5], 2
	s_wait_xcnt 0x0
	s_add_nc_u64 s[56:57], s[40:41], s[4:5]
	s_add_nc_u64 s[4:5], s[42:43], s[4:5]
	s_clause 0x2
	global_store_b64 v15, v[6:7], s[56:57]
	global_store_b32 v15, v3, s[54:55]
	global_store_b64 v15, v[4:5], s[4:5]
.LBB5_28:                               ;   in Loop: Header=BB5_4 Depth=1
	s_wait_xcnt 0x0
	s_or_b32 exec_lo, exec_lo, s72
	s_add_co_i32 s35, s35, 2
	s_mov_b32 s58, 0
	s_mov_b32 s59, 1
.LBB5_29:                               ;   in Loop: Header=BB5_4 Depth=1
	s_wait_storecnt_dscnt 0x0
	s_barrier_signal -1
	s_barrier_wait -1
	ds_load_u16 v3, v15 offset:4612
	s_wait_dscnt 0x0
	v_readfirstlane_b32 s4, v3
	s_bitcmp1_b32 s4, 0
	s_cselect_b32 s5, -1, 0
	s_bitcmp1_b32 s4, 8
	s_cselect_b32 s56, -1, 0
	s_delay_alu instid0(SALU_CYCLE_1) | instskip(NEXT) | instid1(SALU_CYCLE_1)
	s_xor_b32 s4, s56, -1
	s_and_b32 s4, s5, s4
	s_cmp_lt_i32 s58, s35
	s_cselect_b32 s54, -1, 0
	s_delay_alu instid0(SALU_CYCLE_1) | instskip(NEXT) | instid1(SALU_CYCLE_1)
	s_and_b32 s4, s4, s54
	s_and_not1_b32 vcc_lo, exec_lo, s4
	s_cbranch_vccnz .LBB5_70
; %bb.30:                               ;   in Loop: Header=BB5_4 Depth=1
	s_and_b32 s4, s33, exec_lo
	s_cselect_b32 s5, s69, s30
	v_cmp_lt_i32_e64 s4, 1, v2
	s_cmp_lt_f32 s5, s8
	s_add_nc_u64 s[54:55], s[38:39], s[6:7]
	s_cselect_b32 s61, s8, s5
	s_add_co_i32 s5, s46, s29
	s_not_b32 s6, s46
	s_lshl_b32 s69, s46, 1
	s_lshl_b32 s70, s5, 1
	s_add_co_i32 s71, s6, s71
	s_branch .LBB5_32
.LBB5_31:                               ;   in Loop: Header=BB5_32 Depth=2
	s_or_b32 exec_lo, exec_lo, s5
	s_wait_dscnt 0x0
	s_barrier_signal -1
	s_barrier_wait -1
	ds_load_u16 v2, v15 offset:4612
	s_add_co_i32 s58, s58, 1
	s_wait_dscnt 0x0
	v_readfirstlane_b32 s6, v2
	s_bitcmp1_b32 s6, 0
	s_cselect_b32 s5, -1, 0
	s_bitcmp1_b32 s6, 8
	s_cselect_b32 s56, -1, 0
	s_delay_alu instid0(SALU_CYCLE_1) | instskip(NEXT) | instid1(SALU_CYCLE_1)
	s_xor_b32 s6, s56, -1
	s_and_b32 s6, s5, s6
	s_cmp_lt_i32 s58, s35
	s_cselect_b32 s7, -1, 0
	s_delay_alu instid0(SALU_CYCLE_1) | instskip(NEXT) | instid1(SALU_CYCLE_1)
	s_and_b32 s6, s6, s7
	s_and_b32 vcc_lo, exec_lo, s6
	s_cbranch_vccz .LBB5_71
.LBB5_32:                               ;   Parent Loop BB5_4 Depth=1
                                        ; =>  This Loop Header: Depth=2
                                        ;       Child Loop BB5_37 Depth 3
                                        ;         Child Loop BB5_40 Depth 4
                                        ;         Child Loop BB5_54 Depth 4
	;; [unrolled: 1-line block ×3, first 2 shown]
	s_and_saveexec_b32 s5, s0
; %bb.33:                               ;   in Loop: Header=BB5_32 Depth=2
	ds_store_b32 v15, v15 offset:4608
; %bb.34:                               ;   in Loop: Header=BB5_32 Depth=2
	s_or_b32 exec_lo, exec_lo, s5
	s_bitcmp0_b32 s58, 0
	s_cselect_b32 s5, -1, 0
	s_delay_alu instid0(SALU_CYCLE_1)
	s_and_b32 s6, s5, exec_lo
	s_cselect_b32 s60, s69, s70
	s_cmp_lt_i32 s59, 1
	s_cbranch_scc1 .LBB5_66
; %bb.35:                               ;   in Loop: Header=BB5_32 Depth=2
	s_and_b32 s5, s5, exec_lo
	s_cselect_b32 s72, s70, s69
	s_mov_b32 s73, 0
	s_branch .LBB5_37
.LBB5_36:                               ;   in Loop: Header=BB5_37 Depth=3
	s_or_b32 exec_lo, exec_lo, s6
	s_addk_co_i32 s73, 0x80
	s_wait_dscnt 0x0
	s_cmp_ge_i32 s73, s59
	s_barrier_signal -1
	s_barrier_wait -1
	s_cbranch_scc1 .LBB5_66
.LBB5_37:                               ;   Parent Loop BB5_4 Depth=1
                                        ;     Parent Loop BB5_32 Depth=2
                                        ; =>    This Loop Header: Depth=3
                                        ;         Child Loop BB5_40 Depth 4
                                        ;         Child Loop BB5_54 Depth 4
	;; [unrolled: 1-line block ×3, first 2 shown]
	v_add_nc_u32_e32 v2, s73, v0
	s_delay_alu instid0(VALU_DEP_1)
	v_cmp_gt_i32_e64 s5, s59, v2
	s_and_saveexec_b32 s74, s5
	s_cbranch_execz .LBB5_50
; %bb.38:                               ;   in Loop: Header=BB5_37 Depth=3
	v_lshl_add_u32 v2, v2, 1, s72
	s_and_not1_b32 vcc_lo, exec_lo, s4
	s_delay_alu instid0(VALU_DEP_1) | instskip(NEXT) | instid1(VALU_DEP_1)
	v_ashrrev_i32_e32 v3, 31, v2
	v_lshlrev_b64_e32 v[4:5], 2, v[2:3]
	s_delay_alu instid0(VALU_DEP_1)
	v_add_nc_u64_e32 v[2:3], s[40:41], v[4:5]
	v_add_nc_u64_e32 v[4:5], s[42:43], v[4:5]
	global_load_b64 v[10:11], v[2:3], off
	global_load_b32 v3, v15, s[52:53]
	global_load_b64 v[4:5], v[4:5], off
	s_wait_loadcnt 0x2
	v_add_f32_e32 v2, v10, v11
	s_wait_loadcnt 0x1
	s_delay_alu instid0(VALU_DEP_1) | instskip(NEXT) | instid1(VALU_DEP_1)
	v_dual_fmac_f32 v3, -0.5, v2 :: v_dual_mul_f32 v8, 0.5, v2
	v_cmp_ge_f32_e64 s6, s8, v3
	s_delay_alu instid0(VALU_DEP_1)
	v_cndmask_b32_e64 v2, 0, 1, s6
	s_cbranch_vccnz .LBB5_41
; %bb.39:                               ;   in Loop: Header=BB5_37 Depth=3
	v_cmp_gt_f32_e64 s7, v3, -s8
	s_mov_b64 s[56:57], s[50:51]
	s_mov_b32 s75, s71
	s_and_b32 s6, s6, s7
	s_delay_alu instid0(SALU_CYCLE_1)
	v_cndmask_b32_e64 v3, v3, -s8, s6
	s_mov_b64 s[6:7], s[54:55]
.LBB5_40:                               ;   Parent Loop BB5_4 Depth=1
                                        ;     Parent Loop BB5_32 Depth=2
                                        ;       Parent Loop BB5_37 Depth=3
                                        ; =>      This Inner Loop Header: Depth=4
	s_clause 0x1
	global_load_b32 v6, v15, s[6:7]
	global_load_b32 v7, v15, s[56:57]
	s_add_co_i32 s75, s75, -1
	s_wait_xcnt 0x0
	s_add_nc_u64 s[56:57], s[56:57], 4
	s_add_nc_u64 s[6:7], s[6:7], 4
	s_wait_loadcnt 0x1
	v_div_scale_f32 v9, null, v3, v3, v6
	v_div_scale_f32 v20, vcc_lo, v6, v3, v6
	s_wait_loadcnt 0x0
	v_sub_f32_e32 v7, v7, v8
	s_delay_alu instid0(VALU_DEP_3) | instskip(SKIP_1) | instid1(TRANS32_DEP_1)
	v_rcp_f32_e32 v18, v9
	v_nop
	v_fma_f32 v19, -v9, v18, 1.0
	s_delay_alu instid0(VALU_DEP_1) | instskip(NEXT) | instid1(VALU_DEP_1)
	v_fmac_f32_e32 v18, v19, v18
	v_mul_f32_e32 v19, v20, v18
	s_delay_alu instid0(VALU_DEP_1) | instskip(NEXT) | instid1(VALU_DEP_1)
	v_fma_f32 v21, -v9, v19, v20
	v_fmac_f32_e32 v19, v21, v18
	s_delay_alu instid0(VALU_DEP_1) | instskip(NEXT) | instid1(VALU_DEP_1)
	v_fma_f32 v9, -v9, v19, v20
	v_div_fmas_f32 v9, v9, v18, v19
	s_delay_alu instid0(VALU_DEP_1) | instskip(NEXT) | instid1(VALU_DEP_1)
	v_div_fixup_f32 v3, v9, v3, v6
	v_sub_f32_e32 v3, v7, v3
	s_delay_alu instid0(VALU_DEP_1)
	v_cmp_ge_f32_e32 vcc_lo, s8, v3
	v_cmp_gt_f32_e64 s76, v3, -s8
	v_add_co_ci_u32_e64 v2, null, 0, v2, vcc_lo
	s_and_b32 s76, vcc_lo, s76
	s_cmp_lg_u32 s75, 0
	v_cndmask_b32_e64 v3, v3, -s8, s76
	s_cbranch_scc1 .LBB5_40
.LBB5_41:                               ;   in Loop: Header=BB5_37 Depth=3
	s_wait_loadcnt 0x0
	s_delay_alu instid0(VALU_DEP_1) | instskip(SKIP_1) | instid1(VALU_DEP_1)
	v_max_i32_e32 v2, v2, v4
	s_mov_b32 s6, exec_lo
	v_min_i32_e32 v3, v2, v5
	s_delay_alu instid0(VALU_DEP_1)
	v_cmpx_ne_u32_e64 v3, v4
	s_xor_b32 s6, exec_lo, s6
	s_cbranch_execz .LBB5_47
; %bb.42:                               ;   in Loop: Header=BB5_37 Depth=3
	s_mov_b32 s7, exec_lo
	v_cmpx_le_i32_e64 v5, v2
	s_xor_b32 s7, exec_lo, s7
	s_cbranch_execz .LBB5_44
; %bb.43:                               ;   in Loop: Header=BB5_37 Depth=3
	v_dual_mov_b32 v11, v8 :: v_dual_mov_b32 v2, v4
                                        ; implicit-def: $vgpr8
	ds_store_b32 v1, v15
	ds_store_b64 v12, v[10:11]
	ds_store_b64 v14, v[2:3]
                                        ; implicit-def: $vgpr10_vgpr11
.LBB5_44:                               ;   in Loop: Header=BB5_37 Depth=3
	s_and_not1_saveexec_b32 s7, s7
	s_cbranch_execz .LBB5_46
; %bb.45:                               ;   in Loop: Header=BB5_37 Depth=3
	v_dual_mov_b32 v6, v10 :: v_dual_mov_b32 v7, v8
	v_dual_mov_b32 v9, v11 :: v_dual_mov_b32 v2, v4
	v_mov_b32_e32 v4, v3
	ds_store_b32 v1, v16
	ds_store_b128 v12, v[6:9]
	ds_store_b128 v14, v[2:5]
.LBB5_46:                               ;   in Loop: Header=BB5_37 Depth=3
	s_or_b32 exec_lo, exec_lo, s7
                                        ; implicit-def: $vgpr8
                                        ; implicit-def: $vgpr10_vgpr11
.LBB5_47:                               ;   in Loop: Header=BB5_37 Depth=3
	s_and_not1_saveexec_b32 s6, s6
	s_cbranch_execz .LBB5_49
; %bb.48:                               ;   in Loop: Header=BB5_37 Depth=3
	v_mov_b32_e32 v9, v11
	ds_store_b32 v1, v15
	ds_store_b64 v12, v[8:9]
	ds_store_b64 v14, v[4:5]
.LBB5_49:                               ;   in Loop: Header=BB5_37 Depth=3
	s_or_b32 exec_lo, exec_lo, s6
.LBB5_50:                               ;   in Loop: Header=BB5_37 Depth=3
	s_delay_alu instid0(SALU_CYCLE_1)
	s_or_b32 exec_lo, exec_lo, s74
	s_wait_dscnt 0x0
	s_barrier_signal -1
	s_barrier_wait -1
	s_and_saveexec_b32 s6, s5
	s_cbranch_execz .LBB5_64
; %bb.51:                               ;   in Loop: Header=BB5_37 Depth=3
	v_mov_b32_e32 v5, 0
	s_and_saveexec_b32 s5, s1
	s_cbranch_execz .LBB5_61
; %bb.52:                               ;   in Loop: Header=BB5_37 Depth=3
	v_dual_mov_b32 v5, 0 :: v_dual_mov_b32 v3, 0
	s_mov_b32 s56, -1
	s_and_saveexec_b32 s7, s2
	s_cbranch_execz .LBB5_56
; %bb.53:                               ;   in Loop: Header=BB5_37 Depth=3
	v_dual_mov_b32 v3, 0 :: v_dual_mov_b32 v2, 0
	v_dual_mov_b32 v5, 0 :: v_dual_mov_b32 v4, 0
	v_mov_b32_e32 v6, v13
	s_movk_i32 s57, 0x1000
	s_mov_b32 s56, 0
.LBB5_54:                               ;   Parent Loop BB5_4 Depth=1
                                        ;     Parent Loop BB5_32 Depth=2
                                        ;       Parent Loop BB5_37 Depth=3
                                        ; =>      This Inner Loop Header: Depth=4
	s_delay_alu instid0(VALU_DEP_1)
	v_dual_mov_b32 v7, s57 :: v_dual_add_nc_u32 v6, -4, v6
	s_add_co_i32 s57, s57, 16
	ds_load_b128 v[8:11], v7
	v_cmp_eq_u32_e32 vcc_lo, 0, v6
	s_or_b32 s56, vcc_lo, s56
	s_wait_dscnt 0x0
	v_dual_add_nc_u32 v3, v9, v3 :: v_dual_add_nc_u32 v2, v8, v2
	v_dual_add_nc_u32 v5, v11, v5 :: v_dual_add_nc_u32 v4, v10, v4
	s_and_not1_b32 exec_lo, exec_lo, s56
	s_cbranch_execnz .LBB5_54
; %bb.55:                               ;   in Loop: Header=BB5_37 Depth=3
	s_or_b32 exec_lo, exec_lo, s56
	s_delay_alu instid0(VALU_DEP_1) | instskip(SKIP_1) | instid1(VALU_DEP_1)
	v_add_nc_u32_e32 v3, v5, v3
	s_or_not1_b32 s56, s3, exec_lo
	v_add3_u32 v5, v4, v2, v3
	v_mov_b32_e32 v3, v13
.LBB5_56:                               ;   in Loop: Header=BB5_37 Depth=3
	s_or_b32 exec_lo, exec_lo, s7
	s_and_saveexec_b32 s7, s56
	s_cbranch_execz .LBB5_60
; %bb.57:                               ;   in Loop: Header=BB5_37 Depth=3
	s_delay_alu instid0(VALU_DEP_1)
	v_sub_nc_u32_e32 v2, v0, v3
	v_lshl_or_b32 v3, v3, 2, 0x1000
	s_mov_b32 s56, 0
.LBB5_58:                               ;   Parent Loop BB5_4 Depth=1
                                        ;     Parent Loop BB5_32 Depth=2
                                        ;       Parent Loop BB5_37 Depth=3
                                        ; =>      This Inner Loop Header: Depth=4
	ds_load_b32 v4, v3
	v_dual_add_nc_u32 v2, -1, v2 :: v_dual_add_nc_u32 v3, 4, v3
	s_delay_alu instid0(VALU_DEP_1)
	v_cmp_eq_u32_e32 vcc_lo, 0, v2
	s_or_b32 s56, vcc_lo, s56
	s_wait_dscnt 0x0
	v_add_nc_u32_e32 v5, v4, v5
	s_and_not1_b32 exec_lo, exec_lo, s56
	s_cbranch_execnz .LBB5_58
; %bb.59:                               ;   in Loop: Header=BB5_37 Depth=3
	s_or_b32 exec_lo, exec_lo, s56
.LBB5_60:                               ;   in Loop: Header=BB5_37 Depth=3
	s_delay_alu instid0(SALU_CYCLE_1)
	s_or_b32 exec_lo, exec_lo, s7
.LBB5_61:                               ;   in Loop: Header=BB5_37 Depth=3
	s_delay_alu instid0(SALU_CYCLE_1)
	s_or_b32 exec_lo, exec_lo, s5
	ds_load_b32 v2, v15 offset:4608
	ds_load_b64 v[8:9], v14
	ds_load_b32 v4, v1
	ds_load_b64 v[10:11], v12
	s_mov_b32 s5, exec_lo
	s_wait_dscnt 0x3
	v_add3_u32 v2, v5, v0, v2
	s_delay_alu instid0(VALU_DEP_1) | instskip(NEXT) | instid1(VALU_DEP_1)
	v_lshl_add_u32 v2, v2, 1, s60
	v_ashrrev_i32_e32 v3, 31, v2
	s_delay_alu instid0(VALU_DEP_1) | instskip(NEXT) | instid1(VALU_DEP_1)
	v_lshlrev_b64_e32 v[6:7], 2, v[2:3]
	v_add_nc_u64_e32 v[2:3], s[40:41], v[6:7]
	v_add_nc_u64_e32 v[6:7], s[42:43], v[6:7]
	s_wait_dscnt 0x0
	global_store_b64 v[2:3], v[10:11], off
	global_store_b64 v[6:7], v[8:9], off
	s_wait_xcnt 0x0
	v_cmpx_ne_u32_e32 0, v4
	s_cbranch_execz .LBB5_63
; %bb.62:                               ;   in Loop: Header=BB5_37 Depth=3
	ds_load_b64 v[8:9], v12 offset:8
	ds_load_b64 v[10:11], v14 offset:8
	s_wait_dscnt 0x1
	global_store_b64 v[2:3], v[8:9], off offset:8
	s_wait_dscnt 0x0
	global_store_b64 v[6:7], v[10:11], off offset:8
.LBB5_63:                               ;   in Loop: Header=BB5_37 Depth=3
	s_wait_xcnt 0x0
	s_or_b32 exec_lo, exec_lo, s5
.LBB5_64:                               ;   in Loop: Header=BB5_37 Depth=3
	s_delay_alu instid0(SALU_CYCLE_1)
	s_or_b32 exec_lo, exec_lo, s6
	s_sub_co_i32 s5, s59, s73
	s_wait_storecnt 0x0
	s_min_i32 s5, s5, 0x80
	s_barrier_signal -1
	s_add_co_i32 s6, s5, -1
	s_barrier_wait -1
	v_cmp_eq_u32_e32 vcc_lo, s6, v0
	s_and_saveexec_b32 s6, vcc_lo
	s_cbranch_execz .LBB5_36
; %bb.65:                               ;   in Loop: Header=BB5_37 Depth=3
	ds_load_b32 v2, v1
	ds_load_b32 v3, v15 offset:4608
	v_add_nc_u32_e32 v4, s5, v5
	s_wait_dscnt 0x0
	s_delay_alu instid0(VALU_DEP_1)
	v_add3_u32 v2, v4, v2, v3
	ds_store_b32 v15, v2 offset:4608
	s_branch .LBB5_36
.LBB5_66:                               ;   in Loop: Header=BB5_32 Depth=2
	ds_load_b32 v2, v15 offset:4608
	s_wait_dscnt 0x0
	v_readfirstlane_b32 s59, v2
	s_and_saveexec_b32 s5, s0
	s_cbranch_execz .LBB5_31
; %bb.67:                               ;   in Loop: Header=BB5_32 Depth=2
	ds_load_b64 v[2:3], v15
	s_wait_dscnt 0x0
	v_readfirstlane_b32 s6, v2
	v_readfirstlane_b32 s7, v3
	s_and_b32 s56, s6, 0x7fffffff
	s_and_b32 s57, s7, 0x7fffffff
	s_delay_alu instid0(SALU_CYCLE_1) | instskip(SKIP_3) | instid1(SALU_CYCLE_1)
	s_cmp_lt_f32 s56, s57
	s_cselect_b32 s56, s7, s6
	s_sub_f32 s6, s7, s6
	s_bitset0_b32 s56, 31
	s_mul_f32 s56, s63, s56
	s_delay_alu instid0(SALU_CYCLE_3) | instskip(SKIP_1) | instid1(SALU_CYCLE_1)
	s_cmp_lt_f32 s61, s56
	s_cselect_b32 s7, s56, s61
	s_cmp_nlt_f32 s6, s7
	s_cbranch_scc1 .LBB5_31
; %bb.68:                               ;   in Loop: Header=BB5_32 Depth=2
	ds_store_b8 v15, v16 offset:4613
	s_branch .LBB5_31
.LBB5_69:                               ;   in Loop: Header=BB5_4 Depth=1
                                        ; implicit-def: $sgpr58
                                        ; implicit-def: $sgpr60
                                        ; implicit-def: $sgpr35
                                        ; implicit-def: $sgpr59
                                        ; implicit-def: $vgpr5
	s_cbranch_execz .LBB5_3
	s_branch .LBB5_88
.LBB5_70:                               ;   in Loop: Header=BB5_4 Depth=1
	s_mov_b32 s60, s66
.LBB5_71:                               ;   in Loop: Header=BB5_4 Depth=1
	s_and_b32 s4, s0, s5
	s_delay_alu instid0(SALU_CYCLE_1)
	s_and_saveexec_b32 s57, s4
	s_cbranch_execz .LBB5_87
; %bb.72:                               ;   in Loop: Header=BB5_4 Depth=1
	s_cmp_lt_i32 s59, 1
	s_cbranch_scc1 .LBB5_84
; %bb.73:                               ;   in Loop: Header=BB5_4 Depth=1
	s_add_co_i32 s4, s34, 1
	s_not_b32 s5, s34
	s_and_b32 s6, s56, exec_lo
	s_cselect_b32 s4, s4, s5
	s_mov_b32 s61, 0
	s_mov_b32 s5, s4
	;; [unrolled: 1-line block ×5, first 2 shown]
	s_branch .LBB5_75
.LBB5_74:                               ;   in Loop: Header=BB5_75 Depth=2
	s_add_co_i32 s61, s61, 1
	s_delay_alu instid0(SALU_CYCLE_1)
	s_cmp_eq_u32 s61, s59
	s_cbranch_scc1 .LBB5_83
.LBB5_75:                               ;   Parent Loop BB5_4 Depth=1
                                        ; =>  This Loop Header: Depth=2
                                        ;       Child Loop BB5_78 Depth 3
                                        ;       Child Loop BB5_82 Depth 3
	s_lshl_b32 s51, s61, 1
	s_wait_xcnt 0x0
	s_add_co_i32 s52, s51, s60
	s_delay_alu instid0(SALU_CYCLE_1) | instskip(NEXT) | instid1(SALU_CYCLE_1)
	s_ashr_i32 s53, s52, 31
	s_lshl_b64 s[52:53], s[52:53], 2
	s_wait_xcnt 0x0
	s_add_nc_u64 s[54:55], s[42:43], s[52:53]
	global_load_b64 v[2:3], v15, s[54:55]
	s_wait_loadcnt 0x0
	v_readfirstlane_b32 s51, v2
	v_readfirstlane_b32 s69, v3
	s_sub_co_i32 s70, s69, s51
	s_delay_alu instid0(SALU_CYCLE_1)
	s_cmp_lt_i32 s70, 1
	s_cbranch_scc1 .LBB5_74
; %bb.76:                               ;   in Loop: Header=BB5_75 Depth=2
	s_add_nc_u64 s[52:53], s[40:41], s[52:53]
	s_cmp_lt_u32 s70, 16
	global_load_b64 v[2:3], v15, s[52:53]
	s_wait_loadcnt 0x0
	v_add_f32_e32 v2, v2, v3
	s_delay_alu instid0(VALU_DEP_1)
	v_mul_f32_e32 v2, 0.5, v2
	s_cbranch_scc1 .LBB5_80
; %bb.77:                               ;   in Loop: Header=BB5_75 Depth=2
	s_and_b32 s71, s70, 0x7ffffff0
	s_wait_xcnt 0x0
	s_add_co_i32 s52, s50, s46
	s_mov_b32 s51, s71
.LBB5_78:                               ;   Parent Loop BB5_4 Depth=1
                                        ;     Parent Loop BB5_75 Depth=2
                                        ; =>    This Inner Loop Header: Depth=3
	s_wait_xcnt 0x0
	v_mov_b64_e32 v[8:9], s[6:7]
	v_mov_b64_e32 v[6:7], s[4:5]
	s_ashr_i32 s53, s52, 31
	v_dual_mov_b32 v3, v2 :: v_dual_mov_b32 v4, v2
	v_mov_b32_e32 v5, v2
	s_lshl_b64 s[54:55], s[52:53], 2
	s_add_co_i32 s51, s51, -16
	s_add_co_i32 s52, s52, 16
	s_add_nc_u64 s[72:73], s[16:17], s[54:55]
	s_add_nc_u64 s[54:55], s[10:11], s[54:55]
	s_cmp_lg_u32 s51, 0
	s_clause 0x7
	global_store_b128 v15, v[2:5], s[72:73]
	global_store_b128 v15, v[2:5], s[72:73] offset:16
	global_store_b128 v15, v[2:5], s[72:73] offset:32
	;; [unrolled: 1-line block ×3, first 2 shown]
	global_store_b128 v15, v[6:9], s[54:55]
	global_store_b128 v15, v[6:9], s[54:55] offset:16
	global_store_b128 v15, v[6:9], s[54:55] offset:32
	;; [unrolled: 1-line block ×3, first 2 shown]
	s_cbranch_scc1 .LBB5_78
; %bb.79:                               ;   in Loop: Header=BB5_75 Depth=2
	s_add_co_i32 s50, s50, s71
	s_cmp_lg_u32 s70, s71
	s_cselect_b32 s51, -1, 0
	s_delay_alu instid0(SALU_CYCLE_1)
	s_and_b32 vcc_lo, exec_lo, s51
	s_cbranch_vccz .LBB5_74
	s_branch .LBB5_81
.LBB5_80:                               ;   in Loop: Header=BB5_75 Depth=2
	s_mov_b32 s71, 0
	s_cbranch_execz .LBB5_74
.LBB5_81:                               ;   in Loop: Header=BB5_75 Depth=2
	s_ashr_i32 s51, s50, 31
	s_wait_xcnt 0x0
	s_add_nc_u64 s[52:53], s[46:47], s[50:51]
	s_wait_xcnt 0x0
	s_lshl_b64 s[54:55], s[52:53], 2
	s_delay_alu instid0(SALU_CYCLE_1)
	s_add_nc_u64 s[52:53], s[16:17], s[54:55]
	s_add_nc_u64 s[54:55], s[10:11], s[54:55]
.LBB5_82:                               ;   Parent Loop BB5_4 Depth=1
                                        ;     Parent Loop BB5_75 Depth=2
                                        ; =>    This Inner Loop Header: Depth=3
	v_mov_b32_e32 v3, s4
	s_add_co_i32 s71, s71, 1
	s_add_co_i32 s50, s50, 1
	global_store_b32 v15, v2, s[52:53]
	s_wait_xcnt 0x0
	s_add_nc_u64 s[52:53], s[52:53], 4
	s_cmp_ge_i32 s71, s70
	global_store_b32 v15, v3, s[54:55]
	s_wait_xcnt 0x0
	s_add_nc_u64 s[54:55], s[54:55], 4
	s_cbranch_scc0 .LBB5_82
	s_branch .LBB5_74
.LBB5_83:                               ;   in Loop: Header=BB5_4 Depth=1
	s_wait_xcnt 0x4
	v_mov_b32_e32 v5, s69
.LBB5_84:                               ;   in Loop: Header=BB5_4 Depth=1
	s_xor_b32 s4, s56, -1
; %bb.85:                               ;   in Loop: Header=BB5_4 Depth=1
	s_delay_alu instid0(SALU_CYCLE_1)
	s_and_b32 vcc_lo, exec_lo, s4
	s_cbranch_vccz .LBB5_87
; %bb.86:                               ;   in Loop: Header=BB5_4 Depth=1
	global_store_b32 v15, v16, s[12:13]
.LBB5_87:                               ;   in Loop: Header=BB5_4 Depth=1
	s_wait_xcnt 0x0
	s_or_b32 exec_lo, exec_lo, s57
	s_branch .LBB5_3
.LBB5_88:                               ;   in Loop: Header=BB5_4 Depth=1
	s_and_saveexec_b32 s4, s0
	s_cbranch_execz .LBB5_2
; %bb.89:                               ;   in Loop: Header=BB5_4 Depth=1
	v_mov_b32_e32 v2, s46
	s_and_not1_b32 vcc_lo, exec_lo, s62
	s_mov_b32 s5, -1
	global_load_b32 v2, v2, s[26:27] scale_offset
	s_cbranch_vccnz .LBB5_94
; %bb.90:                               ;   in Loop: Header=BB5_4 Depth=1
	global_load_b32 v4, v15, s[18:19]
	s_wait_loadcnt 0x1
	v_subrev_f32_e32 v3, s8, v2
	s_wait_loadcnt 0x0
	s_delay_alu instid0(VALU_DEP_1)
	v_cmp_lt_f32_e32 vcc_lo, v4, v3
	v_cmp_nlt_f32_e64 s6, v4, v3
	s_cbranch_vccz .LBB5_92
; %bb.91:                               ;   in Loop: Header=BB5_4 Depth=1
	global_load_b32 v4, v15, s[18:19] offset:4
	s_wait_loadcnt 0x0
	v_cmp_nge_f32_e64 s6, v4, v3
	s_and_not1_b32 vcc_lo, exec_lo, s6
	s_cbranch_vccz .LBB5_93
	s_branch .LBB5_94
.LBB5_92:                               ;   in Loop: Header=BB5_4 Depth=1
	s_mov_b32 s5, 0
	s_and_not1_b32 vcc_lo, exec_lo, s6
	s_cbranch_vccnz .LBB5_94
.LBB5_93:                               ;   in Loop: Header=BB5_4 Depth=1
	s_add_nc_u64 s[6:7], s[22:23], s[48:49]
	s_mov_b32 s5, 0
	global_store_b32 v15, v15, s[6:7]
.LBB5_94:                               ;   in Loop: Header=BB5_4 Depth=1
	s_and_b32 vcc_lo, exec_lo, s5
	s_cbranch_vccz .LBB5_2
; %bb.95:                               ;   in Loop: Header=BB5_4 Depth=1
	s_ashr_i32 s47, s46, 31
	s_add_co_i32 s5, s34, 1
	s_wait_xcnt 0x0
	s_lshl_b64 s[6:7], s[46:47], 2
	v_mov_b32_e32 v3, s5
	s_add_nc_u64 s[46:47], s[16:17], s[6:7]
	s_add_nc_u64 s[48:49], s[22:23], s[48:49]
	;; [unrolled: 1-line block ×3, first 2 shown]
	s_wait_loadcnt 0x0
	s_clause 0x2
	global_store_b32 v15, v2, s[46:47]
	global_store_b32 v15, v16, s[48:49]
	;; [unrolled: 1-line block ×3, first 2 shown]
	s_branch .LBB5_2
.LBB5_96:
	s_endpgm
	.section	.rodata,"a",@progbits
	.p2align	6, 0x0
	.amdhsa_kernel _ZN9rocsolver6v33100L22stebz_bisection_kernelIfPfEEv15rocblas_erange_iT_T0_iiS5_iiPiPS4_lS6_lS6_lS6_S6_S7_S7_S7_S7_S6_S4_S4_
		.amdhsa_group_segment_fixed_size 4616
		.amdhsa_private_segment_fixed_size 0
		.amdhsa_kernarg_size 168
		.amdhsa_user_sgpr_count 2
		.amdhsa_user_sgpr_dispatch_ptr 0
		.amdhsa_user_sgpr_queue_ptr 0
		.amdhsa_user_sgpr_kernarg_segment_ptr 1
		.amdhsa_user_sgpr_dispatch_id 0
		.amdhsa_user_sgpr_kernarg_preload_length 0
		.amdhsa_user_sgpr_kernarg_preload_offset 0
		.amdhsa_user_sgpr_private_segment_size 0
		.amdhsa_wavefront_size32 1
		.amdhsa_uses_dynamic_stack 0
		.amdhsa_enable_private_segment 0
		.amdhsa_system_sgpr_workgroup_id_x 1
		.amdhsa_system_sgpr_workgroup_id_y 1
		.amdhsa_system_sgpr_workgroup_id_z 0
		.amdhsa_system_sgpr_workgroup_info 0
		.amdhsa_system_vgpr_workitem_id 0
		.amdhsa_next_free_vgpr 22
		.amdhsa_next_free_sgpr 77
		.amdhsa_named_barrier_count 0
		.amdhsa_reserve_vcc 1
		.amdhsa_float_round_mode_32 0
		.amdhsa_float_round_mode_16_64 0
		.amdhsa_float_denorm_mode_32 3
		.amdhsa_float_denorm_mode_16_64 3
		.amdhsa_fp16_overflow 0
		.amdhsa_memory_ordered 1
		.amdhsa_forward_progress 1
		.amdhsa_inst_pref_size 37
		.amdhsa_round_robin_scheduling 0
		.amdhsa_exception_fp_ieee_invalid_op 0
		.amdhsa_exception_fp_denorm_src 0
		.amdhsa_exception_fp_ieee_div_zero 0
		.amdhsa_exception_fp_ieee_overflow 0
		.amdhsa_exception_fp_ieee_underflow 0
		.amdhsa_exception_fp_ieee_inexact 0
		.amdhsa_exception_int_div_zero 0
	.end_amdhsa_kernel
	.section	.text._ZN9rocsolver6v33100L22stebz_bisection_kernelIfPfEEv15rocblas_erange_iT_T0_iiS5_iiPiPS4_lS6_lS6_lS6_S6_S7_S7_S7_S7_S6_S4_S4_,"axG",@progbits,_ZN9rocsolver6v33100L22stebz_bisection_kernelIfPfEEv15rocblas_erange_iT_T0_iiS5_iiPiPS4_lS6_lS6_lS6_S6_S7_S7_S7_S7_S6_S4_S4_,comdat
.Lfunc_end5:
	.size	_ZN9rocsolver6v33100L22stebz_bisection_kernelIfPfEEv15rocblas_erange_iT_T0_iiS5_iiPiPS4_lS6_lS6_lS6_S6_S7_S7_S7_S7_S6_S4_S4_, .Lfunc_end5-_ZN9rocsolver6v33100L22stebz_bisection_kernelIfPfEEv15rocblas_erange_iT_T0_iiS5_iiPiPS4_lS6_lS6_lS6_S6_S7_S7_S7_S7_S6_S4_S4_
                                        ; -- End function
	.set _ZN9rocsolver6v33100L22stebz_bisection_kernelIfPfEEv15rocblas_erange_iT_T0_iiS5_iiPiPS4_lS6_lS6_lS6_S6_S7_S7_S7_S7_S6_S4_S4_.num_vgpr, 22
	.set _ZN9rocsolver6v33100L22stebz_bisection_kernelIfPfEEv15rocblas_erange_iT_T0_iiS5_iiPiPS4_lS6_lS6_lS6_S6_S7_S7_S7_S7_S6_S4_S4_.num_agpr, 0
	.set _ZN9rocsolver6v33100L22stebz_bisection_kernelIfPfEEv15rocblas_erange_iT_T0_iiS5_iiPiPS4_lS6_lS6_lS6_S6_S7_S7_S7_S7_S6_S4_S4_.numbered_sgpr, 77
	.set _ZN9rocsolver6v33100L22stebz_bisection_kernelIfPfEEv15rocblas_erange_iT_T0_iiS5_iiPiPS4_lS6_lS6_lS6_S6_S7_S7_S7_S7_S6_S4_S4_.num_named_barrier, 0
	.set _ZN9rocsolver6v33100L22stebz_bisection_kernelIfPfEEv15rocblas_erange_iT_T0_iiS5_iiPiPS4_lS6_lS6_lS6_S6_S7_S7_S7_S7_S6_S4_S4_.private_seg_size, 0
	.set _ZN9rocsolver6v33100L22stebz_bisection_kernelIfPfEEv15rocblas_erange_iT_T0_iiS5_iiPiPS4_lS6_lS6_lS6_S6_S7_S7_S7_S7_S6_S4_S4_.uses_vcc, 1
	.set _ZN9rocsolver6v33100L22stebz_bisection_kernelIfPfEEv15rocblas_erange_iT_T0_iiS5_iiPiPS4_lS6_lS6_lS6_S6_S7_S7_S7_S7_S6_S4_S4_.uses_flat_scratch, 0
	.set _ZN9rocsolver6v33100L22stebz_bisection_kernelIfPfEEv15rocblas_erange_iT_T0_iiS5_iiPiPS4_lS6_lS6_lS6_S6_S7_S7_S7_S7_S6_S4_S4_.has_dyn_sized_stack, 0
	.set _ZN9rocsolver6v33100L22stebz_bisection_kernelIfPfEEv15rocblas_erange_iT_T0_iiS5_iiPiPS4_lS6_lS6_lS6_S6_S7_S7_S7_S7_S6_S4_S4_.has_recursion, 0
	.set _ZN9rocsolver6v33100L22stebz_bisection_kernelIfPfEEv15rocblas_erange_iT_T0_iiS5_iiPiPS4_lS6_lS6_lS6_S6_S7_S7_S7_S7_S6_S4_S4_.has_indirect_call, 0
	.section	.AMDGPU.csdata,"",@progbits
; Kernel info:
; codeLenInByte = 4692
; TotalNumSgprs: 79
; NumVgprs: 22
; ScratchSize: 0
; MemoryBound: 0
; FloatMode: 240
; IeeeMode: 1
; LDSByteSize: 4616 bytes/workgroup (compile time only)
; SGPRBlocks: 0
; VGPRBlocks: 1
; NumSGPRsForWavesPerEU: 79
; NumVGPRsForWavesPerEU: 22
; NamedBarCnt: 0
; Occupancy: 16
; WaveLimiterHint : 1
; COMPUTE_PGM_RSRC2:SCRATCH_EN: 0
; COMPUTE_PGM_RSRC2:USER_SGPR: 2
; COMPUTE_PGM_RSRC2:TRAP_HANDLER: 0
; COMPUTE_PGM_RSRC2:TGID_X_EN: 1
; COMPUTE_PGM_RSRC2:TGID_Y_EN: 1
; COMPUTE_PGM_RSRC2:TGID_Z_EN: 0
; COMPUTE_PGM_RSRC2:TIDIG_COMP_CNT: 0
	.section	.text._ZN9rocsolver6v33100L22stebz_synthesis_kernelIfPfEEv15rocblas_erange_15rocblas_eorder_iiiT0_iiPiS6_PT_lS6_lS6_liS6_S8_S8_S8_S8_S6_S7_,"axG",@progbits,_ZN9rocsolver6v33100L22stebz_synthesis_kernelIfPfEEv15rocblas_erange_15rocblas_eorder_iiiT0_iiPiS6_PT_lS6_lS6_liS6_S8_S8_S8_S8_S6_S7_,comdat
	.globl	_ZN9rocsolver6v33100L22stebz_synthesis_kernelIfPfEEv15rocblas_erange_15rocblas_eorder_iiiT0_iiPiS6_PT_lS6_lS6_liS6_S8_S8_S8_S8_S6_S7_ ; -- Begin function _ZN9rocsolver6v33100L22stebz_synthesis_kernelIfPfEEv15rocblas_erange_15rocblas_eorder_iiiT0_iiPiS6_PT_lS6_lS6_liS6_S8_S8_S8_S8_S6_S7_
	.p2align	8
	.type	_ZN9rocsolver6v33100L22stebz_synthesis_kernelIfPfEEv15rocblas_erange_15rocblas_eorder_iiiT0_iiPiS6_PT_lS6_lS6_liS6_S8_S8_S8_S8_S6_S7_,@function
_ZN9rocsolver6v33100L22stebz_synthesis_kernelIfPfEEv15rocblas_erange_15rocblas_eorder_iiiT0_iiPiS6_PT_lS6_lS6_liS6_S8_S8_S8_S8_S6_S7_: ; @_ZN9rocsolver6v33100L22stebz_synthesis_kernelIfPfEEv15rocblas_erange_15rocblas_eorder_iiiT0_iiPiS6_PT_lS6_lS6_liS6_S8_S8_S8_S8_S6_S7_
; %bb.0:
	s_clause 0x1
	s_load_b32 s2, s[0:1], 0xb4
	s_load_b32 s3, s[0:1], 0x68
	s_bfe_u32 s4, ttmp6, 0x4000c
	s_and_b32 s5, ttmp6, 15
	s_add_co_i32 s4, s4, 1
	s_getreg_b32 s6, hwreg(HW_REG_IB_STS2, 6, 4)
	s_mul_i32 s4, ttmp9, s4
	s_delay_alu instid0(SALU_CYCLE_1) | instskip(SKIP_4) | instid1(SALU_CYCLE_1)
	s_add_co_i32 s5, s5, s4
	s_wait_kmcnt 0x0
	s_and_b32 s2, s2, 0xffff
	s_cmp_eq_u32 s6, 0
	s_cselect_b32 s4, ttmp9, s5
	v_mad_u32 v4, s4, s2, v0
	s_mov_b32 s2, exec_lo
	s_delay_alu instid0(VALU_DEP_1)
	v_cmpx_gt_i32_e64 s3, v4
	s_cbranch_execz .LBB6_61
; %bb.1:
	s_load_b512 s[4:19], s[0:1], 0x28
	v_ashrrev_i32_e32 v5, 31, v4
	s_load_b128 s[28:31], s[0:1], 0x0
	s_wait_kmcnt 0x0
	global_load_b32 v39, v4, s[6:7] scale_offset
	v_mul_u64_e32 v[6:7], s[10:11], v[4:5]
	v_mul_u64_e32 v[16:17], s[14:15], v[4:5]
	;; [unrolled: 1-line block ×3, first 2 shown]
	s_clause 0x1
	s_load_b256 s[20:27], s[0:1], 0x70
	s_load_b32 s33, s[0:1], 0x10
	v_mul_lo_u32 v0, v4, s30
	s_cmp_eq_u32 s28, 0xe9
	s_delay_alu instid0(VALU_DEP_1) | instskip(SKIP_1) | instid1(VALU_DEP_1)
	v_ashrrev_i32_e32 v1, 31, v0
	s_wait_kmcnt 0x0
	v_lshl_add_u64 v[12:13], v[0:1], 2, s[20:21]
	v_lshl_add_u64 v[0:1], v[6:7], 2, s[8:9]
	;; [unrolled: 1-line block ×4, first 2 shown]
	s_wait_loadcnt 0x0
	v_cmp_gt_i32_e64 s2, 1, v39
	v_cmp_lt_i32_e32 vcc_lo, 0, v39
	s_cbranch_scc1 .LBB6_12
; %bb.2:
	v_mov_b32_e32 v10, 0
	s_and_saveexec_b32 s3, vcc_lo
	s_cbranch_execz .LBB6_14
; %bb.3:
	v_mov_b32_e32 v10, 0
	s_mov_b32 s7, 0
	s_mov_b32 s14, 0
	;; [unrolled: 1-line block ×3, first 2 shown]
	s_branch .LBB6_5
.LBB6_4:                                ;   in Loop: Header=BB6_5 Depth=1
	s_or_b32 exec_lo, exec_lo, s10
	s_add_co_i32 s6, s6, 1
	s_delay_alu instid0(SALU_CYCLE_1) | instskip(SKIP_1) | instid1(SALU_CYCLE_1)
	v_cmp_eq_u32_e32 vcc_lo, s6, v39
	s_or_b32 s14, vcc_lo, s14
	s_and_not1_b32 exec_lo, exec_lo, s14
	s_cbranch_execz .LBB6_13
.LBB6_5:                                ; =>This Loop Header: Depth=1
                                        ;     Child Loop BB6_10 Depth 2
	s_cmp_eq_u32 s6, 0
	s_cbranch_scc1 .LBB6_7
; %bb.6:                                ;   in Loop: Header=BB6_5 Depth=1
	v_lshl_add_u64 v[8:9], s[6:7], 2, v[14:15]
	s_mov_b64 s[10:11], s[6:7]
	global_load_b32 v18, v[8:9], off offset:-4
	s_branch .LBB6_8
.LBB6_7:                                ;   in Loop: Header=BB6_5 Depth=1
	v_mov_b32_e32 v18, 0
	s_mov_b64 s[10:11], 0
.LBB6_8:                                ;   in Loop: Header=BB6_5 Depth=1
	s_wait_xcnt 0x0
	v_lshl_add_u64 v[8:9], s[10:11], 2, v[12:13]
	s_mov_b32 s10, exec_lo
	global_load_b32 v11, v[8:9], off
	s_wait_loadcnt 0x0
	s_wait_xcnt 0x0
	v_cmpx_lt_i32_e32 0, v11
	s_cbranch_execz .LBB6_4
; %bb.9:                                ;   in Loop: Header=BB6_5 Depth=1
	v_ashrrev_i32_e32 v19, 31, v18
	v_ashrrev_i32_e32 v11, 31, v10
	v_mov_b64_e32 v[22:23], v[2:3]
	v_mov_b64_e32 v[24:25], v[0:1]
	s_mov_b32 s11, 0
	v_lshlrev_b64_e32 v[18:19], 2, v[18:19]
	v_lshlrev_b64_e32 v[20:21], 2, v[10:11]
	s_mov_b32 s15, 0
.LBB6_10:                               ;   Parent Loop BB6_5 Depth=1
                                        ; =>  This Inner Loop Header: Depth=2
	s_delay_alu instid0(VALU_DEP_2) | instskip(NEXT) | instid1(VALU_DEP_4)
	v_add_nc_u64_e32 v[26:27], v[22:23], v[18:19]
	v_add_nc_u64_e32 v[28:29], v[24:25], v[18:19]
	s_add_co_i32 s15, s15, 1
	global_load_b32 v11, v[26:27], off
	s_wait_xcnt 0x0
	v_add_nc_u64_e32 v[26:27], v[22:23], v[20:21]
	v_add_nc_u64_e32 v[22:23], 4, v[22:23]
	s_wait_loadcnt 0x0
	global_store_b32 v[26:27], v11, off
	global_load_b32 v11, v[8:9], off
	global_load_b32 v30, v[28:29], off
	v_add_nc_u64_e32 v[26:27], v[24:25], v[20:21]
	v_add_nc_u64_e32 v[24:25], 4, v[24:25]
	s_wait_loadcnt 0x1
	v_cmp_ge_i32_e32 vcc_lo, s15, v11
	v_add_nc_u32_e32 v11, s15, v10
	s_wait_loadcnt 0x0
	global_store_b32 v[26:27], v30, off
	s_or_b32 s11, vcc_lo, s11
	s_wait_xcnt 0x0
	s_and_not1_b32 exec_lo, exec_lo, s11
	s_cbranch_execnz .LBB6_10
; %bb.11:                               ;   in Loop: Header=BB6_5 Depth=1
	s_or_b32 exec_lo, exec_lo, s11
	v_mov_b32_e32 v10, v11
	s_branch .LBB6_4
.LBB6_12:
                                        ; implicit-def: $vgpr10
	s_branch .LBB6_15
.LBB6_13:
	s_or_b32 exec_lo, exec_lo, s14
.LBB6_14:
	s_delay_alu instid0(SALU_CYCLE_1)
	s_or_b32 exec_lo, exec_lo, s3
	s_cbranch_execnz .LBB6_53
.LBB6_15:
	v_lshl_add_u64 v[8:9], v[4:5], 2, s[22:23]
	v_lshlrev_b32_e32 v18, 1, v4
	s_load_b128 s[16:19], s[0:1], 0x90
                                        ; implicit-def: $sgpr6_sgpr7
	global_load_b32 v38, v[8:9], off
	v_mul_lo_u32 v10, v18, s30
	s_delay_alu instid0(VALU_DEP_1) | instskip(SKIP_2) | instid1(SALU_CYCLE_1)
	v_ashrrev_i32_e32 v11, 31, v10
	s_wait_xcnt 0x0
	s_and_saveexec_b32 s3, s2
	s_xor_b32 s2, exec_lo, s3
; %bb.16:
	s_ashr_i32 s7, s30, 31
	s_mov_b32 s6, s30
                                        ; implicit-def: $vgpr39
                                        ; implicit-def: $vgpr12_vgpr13
                                        ; implicit-def: $vgpr14_vgpr15
                                        ; implicit-def: $vgpr16_vgpr17
; %bb.17:
	s_or_saveexec_b32 s20, s2
	v_lshlrev_b64_e32 v[20:21], 2, v[10:11]
	v_mov_b64_e32 v[22:23], s[6:7]
	v_mov_b32_e32 v8, 0
	s_xor_b32 exec_lo, exec_lo, s20
	s_cbranch_execz .LBB6_28
; %bb.18:
	s_wait_kmcnt 0x0
	s_delay_alu instid0(VALU_DEP_3)
	v_add_nc_u64_e32 v[24:25], s[16:17], v[20:21]
	v_add_nc_u64_e32 v[26:27], s[18:19], v[20:21]
	v_lshl_add_u64 v[22:23], v[6:7], 2, s[8:9]
	v_lshl_add_u64 v[16:17], v[16:17], 2, s[12:13]
	v_mov_b32_e32 v8, 0
	s_ashr_i32 s3, s30, 31
	s_mov_b32 s2, s30
	s_mov_b32 s11, 0
	s_lshl_b64 s[6:7], s[2:3], 2
	s_mov_b32 s21, 0
	s_mov_b32 s10, s11
	s_branch .LBB6_20
.LBB6_19:                               ;   in Loop: Header=BB6_20 Depth=1
	s_or_b32 exec_lo, exec_lo, s14
	s_add_co_i32 s10, s10, 1
	s_delay_alu instid0(SALU_CYCLE_1) | instskip(SKIP_1) | instid1(SALU_CYCLE_1)
	v_cmp_eq_u32_e32 vcc_lo, s10, v39
	s_or_b32 s21, vcc_lo, s21
	s_and_not1_b32 exec_lo, exec_lo, s21
	s_cbranch_execz .LBB6_27
.LBB6_20:                               ; =>This Loop Header: Depth=1
                                        ;     Child Loop BB6_25 Depth 2
	s_cmp_eq_u32 s10, 0
	s_cbranch_scc1 .LBB6_22
; %bb.21:                               ;   in Loop: Header=BB6_20 Depth=1
	v_lshl_add_u64 v[28:29], s[10:11], 2, v[14:15]
	s_mov_b64 s[14:15], s[10:11]
	global_load_b32 v30, v[28:29], off offset:-4
	s_branch .LBB6_23
.LBB6_22:                               ;   in Loop: Header=BB6_20 Depth=1
	v_mov_b32_e32 v30, 0
	s_mov_b64 s[14:15], 0
.LBB6_23:                               ;   in Loop: Header=BB6_20 Depth=1
	s_wait_xcnt 0x0
	v_lshl_add_u64 v[28:29], s[14:15], 2, v[12:13]
	s_mov_b32 s14, exec_lo
	global_load_b32 v9, v[28:29], off
	s_wait_loadcnt 0x0
	v_cmpx_lt_i32_e32 0, v9
	s_cbranch_execz .LBB6_19
; %bb.24:                               ;   in Loop: Header=BB6_20 Depth=1
	v_dual_ashrrev_i32 v31, 31, v30 :: v_dual_ashrrev_i32 v9, 31, v8
	s_mov_b32 s15, 0
	s_mov_b32 s22, 0
	s_delay_alu instid0(VALU_DEP_1) | instskip(NEXT) | instid1(VALU_DEP_2)
	v_lshlrev_b64_e32 v[32:33], 2, v[30:31]
	v_lshlrev_b64_e32 v[36:37], 2, v[8:9]
	s_delay_alu instid0(VALU_DEP_2) | instskip(SKIP_1) | instid1(VALU_DEP_3)
	v_add_nc_u64_e32 v[30:31], v[22:23], v[32:33]
	v_add_nc_u64_e32 v[32:33], v[16:17], v[32:33]
	;; [unrolled: 1-line block ×4, first 2 shown]
.LBB6_25:                               ;   Parent Loop BB6_20 Depth=1
                                        ; =>  This Inner Loop Header: Depth=2
	global_load_b32 v9, v[32:33], off
	s_add_co_i32 s22, s22, 1
	v_add_nc_u64_e32 v[40:41], s[6:7], v[34:35]
	s_wait_xcnt 0x0
	v_add_nc_u64_e32 v[32:33], 4, v[32:33]
	s_wait_loadcnt 0x0
	global_store_b32 v[36:37], v9, off
	global_load_b32 v9, v[28:29], off
	global_load_b32 v19, v[30:31], off
	s_wait_xcnt 0x0
	v_add_nc_u64_e32 v[30:31], 4, v[30:31]
	v_add_nc_u64_e32 v[36:37], 4, v[36:37]
	s_wait_loadcnt 0x1
	v_cmp_ge_i32_e32 vcc_lo, s22, v9
	s_wait_loadcnt 0x0
	global_store_b32 v[34:35], v19, off
	s_wait_xcnt 0x0
	v_add_nc_u64_e32 v[34:35], 4, v[34:35]
	v_add_nc_u32_e32 v9, s22, v8
	global_store_b32 v[40:41], v19, off
	s_or_b32 s15, vcc_lo, s15
	s_wait_xcnt 0x0
	s_and_not1_b32 exec_lo, exec_lo, s15
	s_cbranch_execnz .LBB6_25
; %bb.26:                               ;   in Loop: Header=BB6_20 Depth=1
	s_or_b32 exec_lo, exec_lo, s15
	v_mov_b32_e32 v8, v9
	s_branch .LBB6_19
.LBB6_27:
	s_or_b32 exec_lo, exec_lo, s21
	v_mov_b64_e32 v[22:23], s[2:3]
.LBB6_28:
	s_or_b32 exec_lo, exec_lo, s20
; %bb.29:
	s_wait_kmcnt 0x0
	v_add_nc_u64_e32 v[12:13], s[16:17], v[20:21]
	v_add_nc_u64_e32 v[14:15], s[18:19], v[20:21]
	s_mov_b32 s2, 1
	s_mov_b32 s6, exec_lo
	s_delay_alu instid0(VALU_DEP_2)
	v_lshl_add_u64 v[16:17], v[22:23], 2, v[12:13]
	v_cmpx_lt_i32_e32 1, v8
	s_cbranch_execz .LBB6_37
; %bb.30:
	v_lshlrev_b64_e32 v[20:21], 2, v[22:23]
	s_cmp_lg_u64 s[18:19], 0
	s_mov_b32 s10, 0
	s_cselect_b32 s7, -1, 0
	s_delay_alu instid0(VALU_DEP_1) | instskip(NEXT) | instid1(VALU_DEP_1)
	v_lshl_add_u64 v[10:11], v[10:11], 2, v[20:21]
	v_add_nc_u64_e32 v[22:23], s[16:17], v[10:11]
	v_add_nc_u64_e32 v[10:11], v[14:15], v[20:21]
	s_delay_alu instid0(VALU_DEP_2)
	v_add_nc_u64_e32 v[20:21], 4, v[22:23]
	s_branch .LBB6_32
.LBB6_31:                               ;   in Loop: Header=BB6_32 Depth=1
	s_wait_xcnt 0x0
	s_or_b32 exec_lo, exec_lo, s11
	s_add_co_i32 s2, s2, 1
	v_add_nc_u64_e32 v[20:21], 4, v[20:21]
	v_cmp_eq_u32_e32 vcc_lo, s2, v8
	s_or_b32 s10, vcc_lo, s10
	s_delay_alu instid0(SALU_CYCLE_1)
	s_and_not1_b32 exec_lo, exec_lo, s10
	s_cbranch_execz .LBB6_37
.LBB6_32:                               ; =>This Loop Header: Depth=1
                                        ;     Child Loop BB6_33 Depth 2
	s_ashr_i32 s3, s2, 31
	s_add_co_i32 s11, s2, -1
	v_lshl_add_u64 v[24:25], s[2:3], 2, v[16:17]
	s_delay_alu instid0(VALU_DEP_2)
	v_mov_b64_e32 v[26:27], v[20:21]
	s_mov_b32 s14, 0
	s_mov_b32 s15, s2
	global_load_b32 v9, v[24:25], off offset:-4
	s_wait_loadcnt 0x0
	v_dual_mov_b32 v22, s11 :: v_dual_mov_b32 v19, v9
.LBB6_33:                               ;   Parent Loop BB6_32 Depth=1
                                        ; =>  This Inner Loop Header: Depth=2
	global_load_b32 v23, v[26:27], off
	s_wait_xcnt 0x0
	v_add_nc_u64_e32 v[26:27], 4, v[26:27]
	s_wait_loadcnt 0x0
	v_cmp_lt_f32_e32 vcc_lo, v23, v19
	v_cndmask_b32_e64 v22, v22, s15, vcc_lo
	s_add_co_i32 s15, s15, 1
	v_cndmask_b32_e32 v19, v19, v23, vcc_lo
	v_cmp_eq_u32_e32 vcc_lo, s15, v8
	s_or_b32 s14, vcc_lo, s14
	s_delay_alu instid0(SALU_CYCLE_1)
	s_and_not1_b32 exec_lo, exec_lo, s14
	s_cbranch_execnz .LBB6_33
; %bb.34:                               ;   in Loop: Header=BB6_32 Depth=1
	s_or_b32 exec_lo, exec_lo, s14
	v_cmp_ne_u32_e32 vcc_lo, s11, v22
	s_and_saveexec_b32 s11, vcc_lo
	s_cbranch_execz .LBB6_31
; %bb.35:                               ;   in Loop: Header=BB6_32 Depth=1
	v_ashrrev_i32_e32 v23, 31, v22
	s_and_not1_b32 vcc_lo, exec_lo, s7
	s_delay_alu instid0(VALU_DEP_1)
	v_lshl_add_u64 v[26:27], v[22:23], 2, v[16:17]
	s_clause 0x1
	global_store_b32 v[26:27], v9, off
	global_store_b32 v[24:25], v19, off offset:-4
	s_cbranch_vccnz .LBB6_31
; %bb.36:                               ;   in Loop: Header=BB6_32 Depth=1
	s_wait_xcnt 0x0
	v_lshl_add_u64 v[24:25], s[2:3], 2, v[10:11]
	v_lshl_add_u64 v[22:23], v[22:23], 2, v[10:11]
	s_clause 0x1
	global_load_b32 v9, v[24:25], off offset:-4
	global_load_b32 v19, v[22:23], off
	s_wait_loadcnt 0x1
	global_store_b32 v[22:23], v9, off
	s_wait_loadcnt 0x0
	global_store_b32 v[24:25], v19, off offset:-4
	s_branch .LBB6_31
.LBB6_37:
	s_or_b32 exec_lo, exec_lo, s6
	v_mov_b32_e32 v10, 0
	s_mov_b32 s6, exec_lo
	v_cmpx_lt_i32_e32 0, v8
	s_cbranch_execz .LBB6_52
; %bb.38:
	s_load_b128 s[16:19], s[0:1], 0x18
	v_add_nc_u32_e32 v9, -1, v8
	s_wait_kmcnt 0x0
	s_ashr_i32 s1, s19, 31
	s_mov_b32 s0, s19
	s_ashr_i32 s3, s18, 31
	v_mul_u64_e32 v[10:11], s[0:1], v[4:5]
	s_add_co_i32 s1, s30, -1
	s_mov_b32 s2, s18
	v_mul_lo_u32 v20, v4, s1
	s_lshl_b64 s[2:3], s[2:3], 2
	v_ashrrev_i32_e32 v19, 31, v18
	s_add_nc_u64 s[10:11], s[16:17], s[2:3]
	s_cmp_gt_i32 s30, 1
	s_cselect_b32 s7, -1, 0
	s_delay_alu instid0(VALU_DEP_2) | instskip(SKIP_1) | instid1(VALU_DEP_2)
	v_ashrrev_i32_e32 v21, 31, v20
	v_lshl_add_u64 v[18:19], v[18:19], 2, s[26:27]
	v_lshl_add_u64 v[20:21], v[20:21], 2, s[24:25]
	v_lshlrev_b64_e32 v[10:11], 2, v[10:11]
	s_delay_alu instid0(VALU_DEP_1) | instskip(SKIP_2) | instid1(VALU_DEP_2)
	v_add_nc_u64_e32 v[22:23], s[16:17], v[10:11]
	v_add_nc_u64_e32 v[10:11], s[10:11], v[10:11]
	s_mov_b32 s10, 0
	v_add_nc_u64_e32 v[22:23], s[2:3], v[22:23]
	s_delay_alu instid0(VALU_DEP_2) | instskip(SKIP_2) | instid1(SALU_CYCLE_1)
	v_add_nc_u64_e32 v[24:25], 4, v[10:11]
	v_mov_b32_e32 v10, 0
	s_mov_b32 s3, 0
	s_mov_b32 s2, s3
	s_branch .LBB6_41
.LBB6_39:                               ;   in Loop: Header=BB6_41 Depth=1
	s_wait_xcnt 0x0
	s_or_b32 exec_lo, exec_lo, s0
.LBB6_40:                               ;   in Loop: Header=BB6_41 Depth=1
	s_delay_alu instid0(SALU_CYCLE_1) | instskip(SKIP_1) | instid1(SALU_CYCLE_1)
	s_or_b32 exec_lo, exec_lo, s11
	s_add_co_i32 s2, s2, 1
	v_cmp_eq_u32_e32 vcc_lo, s2, v8
	s_or_b32 s10, vcc_lo, s10
	s_delay_alu instid0(SALU_CYCLE_1)
	s_and_not1_b32 exec_lo, exec_lo, s10
	s_cbranch_execz .LBB6_51
.LBB6_41:                               ; =>This Loop Header: Depth=1
                                        ;     Child Loop BB6_43 Depth 2
                                        ;     Child Loop BB6_48 Depth 2
	v_lshl_add_u64 v[26:27], s[2:3], 2, v[12:13]
	v_mov_b64_e32 v[28:29], v[16:17]
	s_mov_b32 s0, s3
	s_mov_b32 s16, s3
                                        ; implicit-def: $sgpr11
                                        ; implicit-def: $sgpr15
                                        ; implicit-def: $sgpr14
	global_load_b32 v30, v[26:27], off
	s_branch .LBB6_43
.LBB6_42:                               ;   in Loop: Header=BB6_43 Depth=2
	s_or_b32 exec_lo, exec_lo, s18
	s_delay_alu instid0(SALU_CYCLE_1) | instskip(SKIP_4) | instid1(SALU_CYCLE_1)
	s_and_b32 s18, exec_lo, s15
	v_mov_b32_e32 v31, s16
	s_or_b32 s0, s18, s0
	s_and_not1_b32 s11, s11, exec_lo
	s_and_b32 s16, s14, exec_lo
	s_or_b32 s11, s11, s16
	s_mov_b32 s16, s17
	s_and_not1_b32 exec_lo, exec_lo, s0
	s_cbranch_execz .LBB6_45
.LBB6_43:                               ;   Parent Loop BB6_41 Depth=1
                                        ; =>  This Inner Loop Header: Depth=2
	global_load_b32 v11, v[28:29], off
	s_wait_xcnt 0x1
	v_mov_b64_e32 v[26:27], v[28:29]
	s_or_b32 s14, s14, exec_lo
	s_or_b32 s15, s15, exec_lo
	s_mov_b32 s18, exec_lo
                                        ; implicit-def: $sgpr17
                                        ; implicit-def: $vgpr28_vgpr29
	s_wait_loadcnt 0x0
	v_cmpx_neq_f32_e32 v30, v11
	s_cbranch_execz .LBB6_42
; %bb.44:                               ;   in Loop: Header=BB6_43 Depth=2
	s_add_co_i32 s17, s16, 1
	v_add_nc_u64_e32 v[28:29], 4, v[26:27]
	v_cmp_eq_u32_e32 vcc_lo, s17, v8
	s_and_not1_b32 s15, s15, exec_lo
	s_and_not1_b32 s14, s14, exec_lo
	s_and_b32 s19, vcc_lo, exec_lo
	s_delay_alu instid0(SALU_CYCLE_1)
	s_or_b32 s15, s15, s19
	s_branch .LBB6_42
.LBB6_45:                               ;   in Loop: Header=BB6_41 Depth=1
	s_or_b32 exec_lo, exec_lo, s0
	s_and_saveexec_b32 s0, s11
	s_delay_alu instid0(SALU_CYCLE_1)
	s_xor_b32 s11, exec_lo, s0
	s_cbranch_execz .LBB6_40
; %bb.46:                               ;   in Loop: Header=BB6_41 Depth=1
	v_cmp_eq_u32_e32 vcc_lo, v31, v9
	v_dual_cndmask_b32 v27, v27, v19 :: v_dual_cndmask_b32 v26, v26, v18
	s_and_not1_b32 vcc_lo, exec_lo, s7
	global_load_b32 v28, v[26:27], off offset:4
	global_load_b32 v29, v[22:23], off
	s_wait_loadcnt 0x1
	v_sub_f32_e32 v11, v28, v11
	s_delay_alu instid0(VALU_DEP_1) | instskip(SKIP_1) | instid1(VALU_DEP_1)
	v_fma_f32 v31, 0.5, v11, v30
	s_wait_loadcnt 0x0
	v_sub_f32_e32 v28, v29, v31
	s_delay_alu instid0(VALU_DEP_1) | instskip(NEXT) | instid1(VALU_DEP_1)
	v_cmp_le_f32_e64 s0, v28, v38
	v_cndmask_b32_e64 v11, 0, 1, s0
	s_cbranch_vccnz .LBB6_49
; %bb.47:                               ;   in Loop: Header=BB6_41 Depth=1
	v_cmp_gt_f32_e64 s14, v28, -v38
	s_wait_xcnt 0x1
	v_mov_b64_e32 v[26:27], v[20:21]
	s_and_b32 s0, s0, s14
	s_delay_alu instid0(SALU_CYCLE_1)
	v_cndmask_b32_e64 v32, v28, -v38, s0
	v_mov_b64_e32 v[28:29], v[24:25]
	s_mov_b32 s0, s1
.LBB6_48:                               ;   Parent Loop BB6_41 Depth=1
                                        ; =>  This Inner Loop Header: Depth=2
	global_load_b32 v33, v[26:27], off
	global_load_b32 v34, v[28:29], off
	s_wait_xcnt 0x0
	v_add_nc_u64_e32 v[28:29], 4, v[28:29]
	v_add_nc_u64_e32 v[26:27], 4, v[26:27]
	s_add_co_i32 s0, s0, -1
	s_wait_loadcnt 0x1
	v_div_scale_f32 v35, null, v32, v32, v33
	v_div_scale_f32 v39, vcc_lo, v33, v32, v33
	s_wait_loadcnt 0x0
	v_sub_f32_e32 v34, v34, v31
	s_delay_alu instid0(VALU_DEP_3) | instskip(SKIP_1) | instid1(TRANS32_DEP_1)
	v_rcp_f32_e32 v36, v35
	v_nop
	v_fma_f32 v37, -v35, v36, 1.0
	s_delay_alu instid0(VALU_DEP_1) | instskip(NEXT) | instid1(VALU_DEP_1)
	v_fmac_f32_e32 v36, v37, v36
	v_mul_f32_e32 v37, v39, v36
	s_delay_alu instid0(VALU_DEP_1) | instskip(NEXT) | instid1(VALU_DEP_1)
	v_fma_f32 v40, -v35, v37, v39
	v_fmac_f32_e32 v37, v40, v36
	s_delay_alu instid0(VALU_DEP_1) | instskip(NEXT) | instid1(VALU_DEP_1)
	v_fma_f32 v35, -v35, v37, v39
	v_div_fmas_f32 v35, v35, v36, v37
	s_delay_alu instid0(VALU_DEP_1) | instskip(NEXT) | instid1(VALU_DEP_1)
	v_div_fixup_f32 v32, v35, v32, v33
	v_sub_f32_e32 v32, v34, v32
	s_delay_alu instid0(VALU_DEP_1)
	v_cmp_le_f32_e32 vcc_lo, v32, v38
	v_cmp_gt_f32_e64 s14, v32, -v38
	v_add_co_ci_u32_e64 v11, null, 0, v11, vcc_lo
	s_and_b32 s14, vcc_lo, s14
	s_cmp_lg_u32 s0, 0
	v_cndmask_b32_e64 v32, v32, -v38, s14
	s_cbranch_scc1 .LBB6_48
.LBB6_49:                               ;   in Loop: Header=BB6_41 Depth=1
	s_delay_alu instid0(VALU_DEP_1)
	v_cmp_le_i32_e32 vcc_lo, s31, v11
	v_cmp_ge_i32_e64 s0, s33, v11
	s_and_b32 s14, vcc_lo, s0
	s_wait_xcnt 0x0
	s_and_saveexec_b32 s0, s14
	s_cbranch_execz .LBB6_39
; %bb.50:                               ;   in Loop: Header=BB6_41 Depth=1
	v_lshl_add_u64 v[26:27], s[2:3], 2, v[14:15]
	v_ashrrev_i32_e32 v11, 31, v10
	global_load_b32 v31, v[26:27], off
	s_wait_xcnt 0x0
	v_lshlrev_b64_e32 v[26:27], 2, v[10:11]
	v_add_nc_u32_e32 v10, 1, v10
	s_delay_alu instid0(VALU_DEP_2)
	v_add_nc_u64_e32 v[28:29], v[0:1], v[26:27]
	v_add_nc_u64_e32 v[26:27], v[2:3], v[26:27]
	global_store_b32 v[28:29], v30, off
	s_wait_loadcnt 0x0
	global_store_b32 v[26:27], v31, off
	s_branch .LBB6_39
.LBB6_51:
	s_or_b32 exec_lo, exec_lo, s10
.LBB6_52:
	s_delay_alu instid0(SALU_CYCLE_1)
	s_or_b32 exec_lo, exec_lo, s6
.LBB6_53:
	v_cmp_lt_i32_e32 vcc_lo, 1, v10
	s_cmp_eq_u32 s29, 0xf2
	v_lshl_add_u64 v[4:5], v[4:5], 2, s[4:5]
	s_cselect_b32 s1, -1, 0
	s_mov_b32 s0, 1
	s_and_b32 s1, s1, vcc_lo
	global_store_b32 v[4:5], v10, off
	s_wait_xcnt 0x0
	s_and_b32 exec_lo, exec_lo, s1
	s_cbranch_execz .LBB6_61
; %bb.54:
	v_lshl_add_u64 v[4:5], v[6:7], 2, s[8:9]
	s_cmp_lg_u64 s[12:13], 0
	s_mov_b32 s3, 0
	s_cselect_b32 s2, -1, 0
	s_delay_alu instid0(VALU_DEP_1)
	v_add_nc_u64_e32 v[4:5], 4, v[4:5]
	s_branch .LBB6_56
.LBB6_55:                               ;   in Loop: Header=BB6_56 Depth=1
	s_wait_xcnt 0x0
	s_or_b32 exec_lo, exec_lo, s4
	s_add_co_i32 s0, s0, 1
	v_add_nc_u64_e32 v[4:5], 4, v[4:5]
	v_cmp_eq_u32_e32 vcc_lo, s0, v10
	s_or_b32 s3, vcc_lo, s3
	s_delay_alu instid0(SALU_CYCLE_1)
	s_and_not1_b32 exec_lo, exec_lo, s3
	s_cbranch_execz .LBB6_61
.LBB6_56:                               ; =>This Loop Header: Depth=1
                                        ;     Child Loop BB6_57 Depth 2
	s_ashr_i32 s1, s0, 31
	s_add_co_i32 s4, s0, -1
	v_lshl_add_u64 v[8:9], s[0:1], 2, v[0:1]
	s_delay_alu instid0(VALU_DEP_2)
	v_mov_b64_e32 v[12:13], v[4:5]
	s_mov_b32 s5, 0
	s_mov_b32 s6, s0
	global_load_b32 v11, v[8:9], off offset:-4
	s_wait_loadcnt 0x0
	v_dual_mov_b32 v6, s4 :: v_dual_mov_b32 v14, v11
.LBB6_57:                               ;   Parent Loop BB6_56 Depth=1
                                        ; =>  This Inner Loop Header: Depth=2
	global_load_b32 v7, v[12:13], off
	s_wait_xcnt 0x0
	v_add_nc_u64_e32 v[12:13], 4, v[12:13]
	s_wait_loadcnt 0x0
	v_cmp_lt_f32_e32 vcc_lo, v7, v14
	v_cndmask_b32_e64 v6, v6, s6, vcc_lo
	s_add_co_i32 s6, s6, 1
	v_cndmask_b32_e32 v14, v14, v7, vcc_lo
	v_cmp_eq_u32_e32 vcc_lo, s6, v10
	s_or_b32 s5, vcc_lo, s5
	s_delay_alu instid0(SALU_CYCLE_1)
	s_and_not1_b32 exec_lo, exec_lo, s5
	s_cbranch_execnz .LBB6_57
; %bb.58:                               ;   in Loop: Header=BB6_56 Depth=1
	s_or_b32 exec_lo, exec_lo, s5
	v_cmp_ne_u32_e32 vcc_lo, s4, v6
	s_and_saveexec_b32 s4, vcc_lo
	s_cbranch_execz .LBB6_55
; %bb.59:                               ;   in Loop: Header=BB6_56 Depth=1
	v_ashrrev_i32_e32 v7, 31, v6
	s_and_not1_b32 vcc_lo, exec_lo, s2
	s_delay_alu instid0(VALU_DEP_1)
	v_lshl_add_u64 v[12:13], v[6:7], 2, v[0:1]
	s_clause 0x1
	global_store_b32 v[12:13], v11, off
	global_store_b32 v[8:9], v14, off offset:-4
	s_cbranch_vccnz .LBB6_55
; %bb.60:                               ;   in Loop: Header=BB6_56 Depth=1
	s_wait_xcnt 0x0
	v_lshl_add_u64 v[8:9], s[0:1], 2, v[2:3]
	v_lshl_add_u64 v[6:7], v[6:7], 2, v[2:3]
	s_clause 0x1
	global_load_b32 v11, v[8:9], off offset:-4
	global_load_b32 v12, v[6:7], off
	s_wait_loadcnt 0x1
	global_store_b32 v[6:7], v11, off
	s_wait_loadcnt 0x0
	global_store_b32 v[8:9], v12, off offset:-4
	s_branch .LBB6_55
.LBB6_61:
	s_endpgm
	.section	.rodata,"a",@progbits
	.p2align	6, 0x0
	.amdhsa_kernel _ZN9rocsolver6v33100L22stebz_synthesis_kernelIfPfEEv15rocblas_erange_15rocblas_eorder_iiiT0_iiPiS6_PT_lS6_lS6_liS6_S8_S8_S8_S8_S6_S7_
		.amdhsa_group_segment_fixed_size 0
		.amdhsa_private_segment_fixed_size 0
		.amdhsa_kernarg_size 424
		.amdhsa_user_sgpr_count 2
		.amdhsa_user_sgpr_dispatch_ptr 0
		.amdhsa_user_sgpr_queue_ptr 0
		.amdhsa_user_sgpr_kernarg_segment_ptr 1
		.amdhsa_user_sgpr_dispatch_id 0
		.amdhsa_user_sgpr_kernarg_preload_length 0
		.amdhsa_user_sgpr_kernarg_preload_offset 0
		.amdhsa_user_sgpr_private_segment_size 0
		.amdhsa_wavefront_size32 1
		.amdhsa_uses_dynamic_stack 0
		.amdhsa_enable_private_segment 0
		.amdhsa_system_sgpr_workgroup_id_x 1
		.amdhsa_system_sgpr_workgroup_id_y 0
		.amdhsa_system_sgpr_workgroup_id_z 0
		.amdhsa_system_sgpr_workgroup_info 0
		.amdhsa_system_vgpr_workitem_id 0
		.amdhsa_next_free_vgpr 42
		.amdhsa_next_free_sgpr 34
		.amdhsa_named_barrier_count 0
		.amdhsa_reserve_vcc 1
		.amdhsa_float_round_mode_32 0
		.amdhsa_float_round_mode_16_64 0
		.amdhsa_float_denorm_mode_32 3
		.amdhsa_float_denorm_mode_16_64 3
		.amdhsa_fp16_overflow 0
		.amdhsa_memory_ordered 1
		.amdhsa_forward_progress 1
		.amdhsa_inst_pref_size 22
		.amdhsa_round_robin_scheduling 0
		.amdhsa_exception_fp_ieee_invalid_op 0
		.amdhsa_exception_fp_denorm_src 0
		.amdhsa_exception_fp_ieee_div_zero 0
		.amdhsa_exception_fp_ieee_overflow 0
		.amdhsa_exception_fp_ieee_underflow 0
		.amdhsa_exception_fp_ieee_inexact 0
		.amdhsa_exception_int_div_zero 0
	.end_amdhsa_kernel
	.section	.text._ZN9rocsolver6v33100L22stebz_synthesis_kernelIfPfEEv15rocblas_erange_15rocblas_eorder_iiiT0_iiPiS6_PT_lS6_lS6_liS6_S8_S8_S8_S8_S6_S7_,"axG",@progbits,_ZN9rocsolver6v33100L22stebz_synthesis_kernelIfPfEEv15rocblas_erange_15rocblas_eorder_iiiT0_iiPiS6_PT_lS6_lS6_liS6_S8_S8_S8_S8_S6_S7_,comdat
.Lfunc_end6:
	.size	_ZN9rocsolver6v33100L22stebz_synthesis_kernelIfPfEEv15rocblas_erange_15rocblas_eorder_iiiT0_iiPiS6_PT_lS6_lS6_liS6_S8_S8_S8_S8_S6_S7_, .Lfunc_end6-_ZN9rocsolver6v33100L22stebz_synthesis_kernelIfPfEEv15rocblas_erange_15rocblas_eorder_iiiT0_iiPiS6_PT_lS6_lS6_liS6_S8_S8_S8_S8_S6_S7_
                                        ; -- End function
	.set _ZN9rocsolver6v33100L22stebz_synthesis_kernelIfPfEEv15rocblas_erange_15rocblas_eorder_iiiT0_iiPiS6_PT_lS6_lS6_liS6_S8_S8_S8_S8_S6_S7_.num_vgpr, 42
	.set _ZN9rocsolver6v33100L22stebz_synthesis_kernelIfPfEEv15rocblas_erange_15rocblas_eorder_iiiT0_iiPiS6_PT_lS6_lS6_liS6_S8_S8_S8_S8_S6_S7_.num_agpr, 0
	.set _ZN9rocsolver6v33100L22stebz_synthesis_kernelIfPfEEv15rocblas_erange_15rocblas_eorder_iiiT0_iiPiS6_PT_lS6_lS6_liS6_S8_S8_S8_S8_S6_S7_.numbered_sgpr, 34
	.set _ZN9rocsolver6v33100L22stebz_synthesis_kernelIfPfEEv15rocblas_erange_15rocblas_eorder_iiiT0_iiPiS6_PT_lS6_lS6_liS6_S8_S8_S8_S8_S6_S7_.num_named_barrier, 0
	.set _ZN9rocsolver6v33100L22stebz_synthesis_kernelIfPfEEv15rocblas_erange_15rocblas_eorder_iiiT0_iiPiS6_PT_lS6_lS6_liS6_S8_S8_S8_S8_S6_S7_.private_seg_size, 0
	.set _ZN9rocsolver6v33100L22stebz_synthesis_kernelIfPfEEv15rocblas_erange_15rocblas_eorder_iiiT0_iiPiS6_PT_lS6_lS6_liS6_S8_S8_S8_S8_S6_S7_.uses_vcc, 1
	.set _ZN9rocsolver6v33100L22stebz_synthesis_kernelIfPfEEv15rocblas_erange_15rocblas_eorder_iiiT0_iiPiS6_PT_lS6_lS6_liS6_S8_S8_S8_S8_S6_S7_.uses_flat_scratch, 0
	.set _ZN9rocsolver6v33100L22stebz_synthesis_kernelIfPfEEv15rocblas_erange_15rocblas_eorder_iiiT0_iiPiS6_PT_lS6_lS6_liS6_S8_S8_S8_S8_S6_S7_.has_dyn_sized_stack, 0
	.set _ZN9rocsolver6v33100L22stebz_synthesis_kernelIfPfEEv15rocblas_erange_15rocblas_eorder_iiiT0_iiPiS6_PT_lS6_lS6_liS6_S8_S8_S8_S8_S6_S7_.has_recursion, 0
	.set _ZN9rocsolver6v33100L22stebz_synthesis_kernelIfPfEEv15rocblas_erange_15rocblas_eorder_iiiT0_iiPiS6_PT_lS6_lS6_liS6_S8_S8_S8_S8_S6_S7_.has_indirect_call, 0
	.section	.AMDGPU.csdata,"",@progbits
; Kernel info:
; codeLenInByte = 2712
; TotalNumSgprs: 36
; NumVgprs: 42
; ScratchSize: 0
; MemoryBound: 0
; FloatMode: 240
; IeeeMode: 1
; LDSByteSize: 0 bytes/workgroup (compile time only)
; SGPRBlocks: 0
; VGPRBlocks: 2
; NumSGPRsForWavesPerEU: 36
; NumVGPRsForWavesPerEU: 42
; NamedBarCnt: 0
; Occupancy: 16
; WaveLimiterHint : 1
; COMPUTE_PGM_RSRC2:SCRATCH_EN: 0
; COMPUTE_PGM_RSRC2:USER_SGPR: 2
; COMPUTE_PGM_RSRC2:TRAP_HANDLER: 0
; COMPUTE_PGM_RSRC2:TGID_X_EN: 1
; COMPUTE_PGM_RSRC2:TGID_Y_EN: 0
; COMPUTE_PGM_RSRC2:TGID_Z_EN: 0
; COMPUTE_PGM_RSRC2:TIDIG_COMP_CNT: 0
	.section	.text._ZN9rocsolver6v33100L15bdsvdx_abs_eigsIfEEviPiPT_lS4_,"axG",@progbits,_ZN9rocsolver6v33100L15bdsvdx_abs_eigsIfEEviPiPT_lS4_,comdat
	.globl	_ZN9rocsolver6v33100L15bdsvdx_abs_eigsIfEEviPiPT_lS4_ ; -- Begin function _ZN9rocsolver6v33100L15bdsvdx_abs_eigsIfEEviPiPT_lS4_
	.p2align	8
	.type	_ZN9rocsolver6v33100L15bdsvdx_abs_eigsIfEEviPiPT_lS4_,@function
_ZN9rocsolver6v33100L15bdsvdx_abs_eigsIfEEviPiPT_lS4_: ; @_ZN9rocsolver6v33100L15bdsvdx_abs_eigsIfEEviPiPT_lS4_
; %bb.0:
	s_load_b256 s[4:11], s[0:1], 0x8
	s_bfe_u32 s2, ttmp6, 0x40010
	s_bfe_u32 s3, ttmp6, 0x40004
	s_add_co_i32 s2, s2, 1
	s_getreg_b32 s13, hwreg(HW_REG_IB_STS2, 6, 4)
	s_mul_i32 s2, ttmp7, s2
	s_delay_alu instid0(SALU_CYCLE_1) | instskip(SKIP_2) | instid1(SALU_CYCLE_1)
	s_add_co_i32 s3, s3, s2
	s_cmp_eq_u32 s13, 0
	s_cselect_b32 s2, ttmp7, s3
	s_ashr_i32 s3, s2, 31
	s_delay_alu instid0(SALU_CYCLE_1)
	s_lshl_b64 s[14:15], s[2:3], 2
	s_wait_kmcnt 0x0
	s_add_nc_u64 s[4:5], s[4:5], s[14:15]
	s_load_b32 s12, s[0:1], 0x0
	s_load_b32 s14, s[4:5], 0x0
	;; [unrolled: 1-line block ×3, first 2 shown]
	s_wait_kmcnt 0x0
	s_cmp_le_i32 s14, s12
	s_cbranch_scc1 .LBB7_2
; %bb.1:
	v_dual_mov_b32 v1, 0 :: v_dual_mov_b32 v2, s12
	s_mov_b32 s14, s12
	global_store_b32 v1, v2, s[4:5]
.LBB7_2:
	s_bfe_u32 s0, ttmp6, 0x4000c
	s_and_b32 s1, ttmp6, 15
	s_add_co_i32 s0, s0, 1
	s_wait_xcnt 0x0
	s_and_b32 s4, 0xffff, s15
	s_mul_i32 s0, ttmp9, s0
	s_delay_alu instid0(SALU_CYCLE_1) | instskip(SKIP_2) | instid1(SALU_CYCLE_1)
	s_add_co_i32 s1, s1, s0
	s_cmp_eq_u32 s13, 0
	s_cselect_b32 s0, ttmp9, s1
	v_mad_u32 v0, s0, s4, v0
	s_mov_b32 s0, exec_lo
	s_delay_alu instid0(VALU_DEP_1)
	v_cmpx_gt_i32_e64 s14, v0
	s_cbranch_execz .LBB7_4
; %bb.3:
	s_mul_i32 s0, s2, s12
	s_delay_alu instid0(SALU_CYCLE_1) | instskip(NEXT) | instid1(SALU_CYCLE_1)
	s_lshl_b32 s0, s0, 1
	s_ashr_i32 s1, s0, 31
	s_delay_alu instid0(SALU_CYCLE_1) | instskip(NEXT) | instid1(SALU_CYCLE_1)
	s_lshl_b64 s[0:1], s[0:1], 2
	s_add_nc_u64 s[0:1], s[10:11], s[0:1]
	global_load_b32 v1, v0, s[0:1] scale_offset
	s_wait_xcnt 0x0
	s_mul_u64 s[0:1], s[8:9], s[2:3]
	s_delay_alu instid0(SALU_CYCLE_1) | instskip(NEXT) | instid1(SALU_CYCLE_1)
	s_lshl_b64 s[0:1], s[0:1], 2
	s_add_nc_u64 s[0:1], s[6:7], s[0:1]
	s_wait_loadcnt 0x0
	v_xor_b32_e32 v1, 0x80000000, v1
	global_store_b32 v0, v1, s[0:1] scale_offset
.LBB7_4:
	s_endpgm
	.section	.rodata,"a",@progbits
	.p2align	6, 0x0
	.amdhsa_kernel _ZN9rocsolver6v33100L15bdsvdx_abs_eigsIfEEviPiPT_lS4_
		.amdhsa_group_segment_fixed_size 0
		.amdhsa_private_segment_fixed_size 0
		.amdhsa_kernarg_size 296
		.amdhsa_user_sgpr_count 2
		.amdhsa_user_sgpr_dispatch_ptr 0
		.amdhsa_user_sgpr_queue_ptr 0
		.amdhsa_user_sgpr_kernarg_segment_ptr 1
		.amdhsa_user_sgpr_dispatch_id 0
		.amdhsa_user_sgpr_kernarg_preload_length 0
		.amdhsa_user_sgpr_kernarg_preload_offset 0
		.amdhsa_user_sgpr_private_segment_size 0
		.amdhsa_wavefront_size32 1
		.amdhsa_uses_dynamic_stack 0
		.amdhsa_enable_private_segment 0
		.amdhsa_system_sgpr_workgroup_id_x 1
		.amdhsa_system_sgpr_workgroup_id_y 1
		.amdhsa_system_sgpr_workgroup_id_z 0
		.amdhsa_system_sgpr_workgroup_info 0
		.amdhsa_system_vgpr_workitem_id 0
		.amdhsa_next_free_vgpr 3
		.amdhsa_next_free_sgpr 16
		.amdhsa_named_barrier_count 0
		.amdhsa_reserve_vcc 0
		.amdhsa_float_round_mode_32 0
		.amdhsa_float_round_mode_16_64 0
		.amdhsa_float_denorm_mode_32 3
		.amdhsa_float_denorm_mode_16_64 3
		.amdhsa_fp16_overflow 0
		.amdhsa_memory_ordered 1
		.amdhsa_forward_progress 1
		.amdhsa_inst_pref_size 3
		.amdhsa_round_robin_scheduling 0
		.amdhsa_exception_fp_ieee_invalid_op 0
		.amdhsa_exception_fp_denorm_src 0
		.amdhsa_exception_fp_ieee_div_zero 0
		.amdhsa_exception_fp_ieee_overflow 0
		.amdhsa_exception_fp_ieee_underflow 0
		.amdhsa_exception_fp_ieee_inexact 0
		.amdhsa_exception_int_div_zero 0
	.end_amdhsa_kernel
	.section	.text._ZN9rocsolver6v33100L15bdsvdx_abs_eigsIfEEviPiPT_lS4_,"axG",@progbits,_ZN9rocsolver6v33100L15bdsvdx_abs_eigsIfEEviPiPT_lS4_,comdat
.Lfunc_end7:
	.size	_ZN9rocsolver6v33100L15bdsvdx_abs_eigsIfEEviPiPT_lS4_, .Lfunc_end7-_ZN9rocsolver6v33100L15bdsvdx_abs_eigsIfEEviPiPT_lS4_
                                        ; -- End function
	.set _ZN9rocsolver6v33100L15bdsvdx_abs_eigsIfEEviPiPT_lS4_.num_vgpr, 3
	.set _ZN9rocsolver6v33100L15bdsvdx_abs_eigsIfEEviPiPT_lS4_.num_agpr, 0
	.set _ZN9rocsolver6v33100L15bdsvdx_abs_eigsIfEEviPiPT_lS4_.numbered_sgpr, 16
	.set _ZN9rocsolver6v33100L15bdsvdx_abs_eigsIfEEviPiPT_lS4_.num_named_barrier, 0
	.set _ZN9rocsolver6v33100L15bdsvdx_abs_eigsIfEEviPiPT_lS4_.private_seg_size, 0
	.set _ZN9rocsolver6v33100L15bdsvdx_abs_eigsIfEEviPiPT_lS4_.uses_vcc, 0
	.set _ZN9rocsolver6v33100L15bdsvdx_abs_eigsIfEEviPiPT_lS4_.uses_flat_scratch, 0
	.set _ZN9rocsolver6v33100L15bdsvdx_abs_eigsIfEEviPiPT_lS4_.has_dyn_sized_stack, 0
	.set _ZN9rocsolver6v33100L15bdsvdx_abs_eigsIfEEviPiPT_lS4_.has_recursion, 0
	.set _ZN9rocsolver6v33100L15bdsvdx_abs_eigsIfEEviPiPT_lS4_.has_indirect_call, 0
	.section	.AMDGPU.csdata,"",@progbits
; Kernel info:
; codeLenInByte = 296
; TotalNumSgprs: 16
; NumVgprs: 3
; ScratchSize: 0
; MemoryBound: 0
; FloatMode: 240
; IeeeMode: 1
; LDSByteSize: 0 bytes/workgroup (compile time only)
; SGPRBlocks: 0
; VGPRBlocks: 0
; NumSGPRsForWavesPerEU: 16
; NumVGPRsForWavesPerEU: 3
; NamedBarCnt: 0
; Occupancy: 16
; WaveLimiterHint : 0
; COMPUTE_PGM_RSRC2:SCRATCH_EN: 0
; COMPUTE_PGM_RSRC2:USER_SGPR: 2
; COMPUTE_PGM_RSRC2:TRAP_HANDLER: 0
; COMPUTE_PGM_RSRC2:TGID_X_EN: 1
; COMPUTE_PGM_RSRC2:TGID_Y_EN: 1
; COMPUTE_PGM_RSRC2:TGID_Z_EN: 0
; COMPUTE_PGM_RSRC2:TIDIG_COMP_CNT: 0
	.section	.text._ZN9rocsolver6v33100L12stein_kernelIffPfEEviPT0_lS4_lPiS4_lS5_lS5_lT1_iilS5_lS5_S4_S5_S3_S3_,"axG",@progbits,_ZN9rocsolver6v33100L12stein_kernelIffPfEEviPT0_lS4_lPiS4_lS5_lS5_lT1_iilS5_lS5_S4_S5_S3_S3_,comdat
	.globl	_ZN9rocsolver6v33100L12stein_kernelIffPfEEviPT0_lS4_lPiS4_lS5_lS5_lT1_iilS5_lS5_S4_S5_S3_S3_ ; -- Begin function _ZN9rocsolver6v33100L12stein_kernelIffPfEEviPT0_lS4_lPiS4_lS5_lS5_lT1_iilS5_lS5_S4_S5_S3_S3_
	.p2align	8
	.type	_ZN9rocsolver6v33100L12stein_kernelIffPfEEviPT0_lS4_lPiS4_lS5_lS5_lT1_iilS5_lS5_S4_S5_S3_S3_,@function
_ZN9rocsolver6v33100L12stein_kernelIffPfEEviPT0_lS4_lPiS4_lS5_lS5_lT1_iilS5_lS5_S4_S5_S3_S3_: ; @_ZN9rocsolver6v33100L12stein_kernelIffPfEEviPT0_lS4_lPiS4_lS5_lS5_lT1_iilS5_lS5_S4_S5_S3_S3_
; %bb.0:
	s_load_b512 s[4:19], s[0:1], 0x8
	s_bfe_u32 s2, ttmp6, 0x40010
	s_bfe_u32 s3, ttmp6, 0x40004
	s_add_co_i32 s2, s2, 1
	s_getreg_b32 s20, hwreg(HW_REG_IB_STS2, 6, 4)
	s_mul_i32 s2, ttmp7, s2
	s_delay_alu instid0(SALU_CYCLE_1) | instskip(SKIP_2) | instid1(SALU_CYCLE_1)
	s_add_co_i32 s3, s3, s2
	s_cmp_eq_u32 s20, 0
	s_cselect_b32 s48, ttmp7, s3
	s_ashr_i32 s49, s48, 31
	s_delay_alu instid0(SALU_CYCLE_1)
	s_lshl_b64 s[34:35], s[48:49], 2
	s_wait_kmcnt 0x0
	s_add_nc_u64 s[2:3], s[12:13], s[34:35]
	s_load_b32 s44, s[2:3], 0x0
	s_wait_kmcnt 0x0
	s_cmp_lt_i32 s44, 1
	s_cbranch_scc1 .LBB8_278
; %bb.1:
	s_clause 0x1
	s_load_b256 s[36:43], s[0:1], 0x70
	s_load_b128 s[28:31], s[0:1], 0x90
	s_mov_b64 s[46:47], 0
	s_wait_kmcnt 0x0
	s_cmp_eq_u64 s[38:39], 0
	s_cbranch_scc1 .LBB8_3
; %bb.2:
	s_mul_u64 s[2:3], s[40:41], s[48:49]
	s_delay_alu instid0(SALU_CYCLE_1) | instskip(NEXT) | instid1(SALU_CYCLE_1)
	s_lshl_b64 s[2:3], s[2:3], 2
	s_add_nc_u64 s[46:47], s[38:39], s[2:3]
.LBB8_3:
	v_cmp_eq_u32_e64 s2, 0, v0
	s_and_saveexec_b32 s3, s2
; %bb.4:
	v_mov_b32_e32 v1, 0
	ds_store_b32 v1, v1
; %bb.5:
	s_or_b32 exec_lo, exec_lo, s3
	v_cmp_gt_u32_e32 vcc_lo, s44, v0
	s_cmp_lg_u64 s[46:47], 0
	s_cselect_b32 s25, -1, 0
	s_delay_alu instid0(SALU_CYCLE_1) | instskip(NEXT) | instid1(SALU_CYCLE_1)
	s_and_b32 s12, vcc_lo, s25
	s_and_saveexec_b32 s3, s12
	s_cbranch_execz .LBB8_13
; %bb.6:
	v_xad_u32 v1, v0, -1, s44
	v_mov_b32_e32 v2, v0
	s_mov_b32 s13, -1
	s_mov_b32 s12, exec_lo
	s_delay_alu instid0(VALU_DEP_2)
	v_cmpx_lt_u32_e32 0xff, v1
	s_cbranch_execz .LBB8_10
; %bb.7:
	v_dual_lshrrev_b32 v1, 8, v1 :: v_dual_mov_b32 v3, 0
	s_mov_b32 s13, 0
	s_delay_alu instid0(VALU_DEP_1) | instskip(SKIP_1) | instid1(VALU_DEP_2)
	v_add_nc_u32_e32 v6, 1, v1
	v_or_b32_e32 v1, 0x100, v0
	v_and_b32_e32 v7, 0x1fffffe, v6
	s_delay_alu instid0(VALU_DEP_2) | instskip(NEXT) | instid1(VALU_DEP_2)
	v_mov_b64_e32 v[4:5], v[0:1]
	v_mov_b32_e32 v8, v7
.LBB8_8:                                ; =>This Inner Loop Header: Depth=1
	s_delay_alu instid0(VALU_DEP_1) | instskip(SKIP_1) | instid1(VALU_DEP_2)
	v_dual_mov_b32 v2, v4 :: v_dual_add_nc_u32 v8, -2, v8
	v_add_nc_u32_e32 v4, 0x200, v4
	v_lshl_add_u64 v[10:11], v[2:3], 2, s[46:47]
	v_dual_mov_b32 v2, v5 :: v_dual_add_nc_u32 v5, 0x200, v5
	s_delay_alu instid0(VALU_DEP_4) | instskip(NEXT) | instid1(VALU_DEP_2)
	v_cmp_eq_u32_e32 vcc_lo, 0, v8
	v_lshl_add_u64 v[12:13], v[2:3], 2, s[46:47]
	s_clause 0x1
	global_store_b32 v[10:11], v3, off
	global_store_b32 v[12:13], v3, off
	s_or_b32 s13, vcc_lo, s13
	s_wait_xcnt 0x0
	s_and_not1_b32 exec_lo, exec_lo, s13
	s_cbranch_execnz .LBB8_8
; %bb.9:
	s_or_b32 exec_lo, exec_lo, s13
	v_cmp_ne_u32_e32 vcc_lo, v6, v7
	v_lshl_or_b32 v2, v7, 8, v0
	s_or_not1_b32 s13, vcc_lo, exec_lo
.LBB8_10:
	s_or_b32 exec_lo, exec_lo, s12
	s_delay_alu instid0(SALU_CYCLE_1)
	s_and_b32 exec_lo, exec_lo, s13
	s_cbranch_execz .LBB8_13
; %bb.11:
	v_mov_b32_e32 v3, 0
	s_mov_b32 s12, 0
	s_delay_alu instid0(VALU_DEP_1)
	v_lshl_add_u64 v[4:5], v[2:3], 2, s[46:47]
.LBB8_12:                               ; =>This Inner Loop Header: Depth=1
	v_add_nc_u32_e32 v2, 0x100, v2
	global_store_b32 v[4:5], v3, off
	s_wait_xcnt 0x0
	v_add_nc_u64_e32 v[4:5], 0x400, v[4:5]
	v_cmp_le_i32_e32 vcc_lo, s44, v2
	s_or_b32 s12, vcc_lo, s12
	s_delay_alu instid0(SALU_CYCLE_1)
	s_and_not1_b32 exec_lo, exec_lo, s12
	s_cbranch_execnz .LBB8_12
.LBB8_13:
                                        ; implicit-def: $vgpr44 : SGPR spill to VGPR lane
	v_writelane_b32 v44, s36, 0
	v_writelane_b32 v44, s37, 1
	;; [unrolled: 1-line block ×8, first 2 shown]
	s_or_b32 exec_lo, exec_lo, s3
	s_load_b256 s[36:43], s[0:1], 0x48
	v_mov_b32_e32 v1, s44
	s_wait_kmcnt 0x0
	s_mul_u64 s[12:13], s[36:37], s[48:49]
	s_delay_alu instid0(SALU_CYCLE_1) | instskip(NEXT) | instid1(SALU_CYCLE_1)
	s_lshl_b64 s[12:13], s[12:13], 2
	s_add_nc_u64 s[18:19], s[18:19], s[12:13]
	global_load_b32 v14, v1, s[18:19] offset:-4 scale_offset
	s_wait_loadcnt 0x0
	v_cmp_gt_i32_e32 vcc_lo, 1, v14
	s_cbranch_vccnz .LBB8_276
; %bb.14:
	s_clause 0x2
	s_load_b64 s[22:23], s[0:1], 0xa0
	s_load_b32 s24, s[0:1], 0x0
	s_load_b64 s[12:13], s[0:1], 0x68
	v_readlane_b32 s52, v44, 0
	s_mul_u64 s[10:11], s[10:11], s[48:49]
	v_readlane_b32 s53, v44, 1
	s_mul_u64 s[20:21], s[40:41], s[48:49]
	s_lshl_b64 s[10:11], s[10:11], 2
	s_lshl_b64 s[50:51], s[20:21], 2
	s_add_nc_u64 s[20:21], s[8:9], s[10:11]
	s_mul_u64 s[6:7], s[6:7], s[48:49]
	s_mul_u64 s[26:27], s[52:53], s[48:49]
	;; [unrolled: 1-line block ×3, first 2 shown]
	s_lshl_b64 s[6:7], s[6:7], 2
	s_lshl_b64 s[26:27], s[26:27], 2
	;; [unrolled: 1-line block ×3, first 2 shown]
	s_add_nc_u64 s[16:17], s[4:5], s[6:7]
	s_add_nc_u64 s[6:7], s[42:43], s[26:27]
	s_and_b32 s33, s2, s25
	s_mov_b32 s37, 0
	s_wait_kmcnt 0x0
	v_div_scale_f32 v1, null, s23, s23, 1.0
	v_div_scale_f32 v5, vcc_lo, 1.0, s23, 1.0
	s_mul_i32 s8, s24, 5
	v_rcp_f32_e32 v3, v1
	v_nop
	v_xor_b32_e32 v1, 0x80000000, v1
	v_max_num_f32_e64 v7, s22, s22
	s_ashr_i32 s9, s8, 31
	s_mul_i32 s42, s24, 3
	s_mul_u64 s[8:9], s[8:9], s[48:49]
	s_ashr_i32 s25, s24, 31
	v_fma_f32 v4, v1, v3, 1.0
	v_lshlrev_b32_e32 v2, 2, v0
	s_lshl_b64 s[8:9], s[8:9], 2
	s_ashr_i32 s11, s12, 31
	s_mov_b32 s10, s12
	s_delay_alu instid0(VALU_DEP_1) | instskip(SKIP_3) | instid1(VALU_DEP_1)
	v_dual_fmac_f32 v3, v4, v3 :: v_dual_add_nc_u32 v28, 8, v2
	s_ashr_i32 s43, s42, 31
	s_mul_u64 s[26:27], s[24:25], s[48:49]
	s_add_nc_u64 s[48:49], s[28:29], s[8:9]
	v_mul_f32_e32 v4, v5, v3
	s_lshl_b64 s[10:11], s[10:11], 2
	s_lshl_b64 s[66:67], s[42:43], 2
	v_readlane_b32 s54, v44, 2
	v_readlane_b32 s55, v44, 3
	v_fma_f32 v6, v1, v4, v5
	s_mov_b32 s45, s37
	s_add_nc_u64 s[54:55], s[6:7], s[10:11]
	s_add_nc_u64 s[6:7], s[8:9], s[66:67]
	s_lshl_b64 s[52:53], s[44:45], 2
	v_dual_fmac_f32 v4, v6, v3 :: v_dual_add_nc_u32 v6, s24, v0
	s_lshl_b64 s[60:61], s[24:25], 3
	s_add_nc_u64 s[6:7], s[28:29], s[6:7]
	s_add_nc_u64 s[14:15], s[14:15], s[40:41]
	s_delay_alu instid0(VALU_DEP_1)
	v_fmac_f32_e32 v5, v1, v4
	s_add_nc_u64 s[38:39], s[38:39], s[50:51]
	s_add_nc_u64 s[40:41], s[18:19], s[52:53]
	s_sub_nc_u64 s[50:51], 0, s[60:61]
	s_add_nc_u64 s[52:53], s[48:49], s[66:67]
	v_div_fmas_f32 v3, v5, v3, v4
	v_readlane_b32 s56, v44, 4
	v_readlane_b32 s57, v44, 5
	;; [unrolled: 1-line block ×4, first 2 shown]
	v_div_fixup_f32 v4, v3, s23, 1.0
	v_dual_max_num_f32 v30, 0, v7 :: v_dual_ashrrev_i32 v7, 31, v6
	v_mov_b32_e32 v3, 0
	s_lshl_b64 s[58:59], s[24:25], 2
	s_add_nc_u64 s[56:57], s[52:53], s[50:51]
	v_cmp_gt_u32_e64 s0, 0x80, v0
	v_lshl_add_u64 v[12:13], v[6:7], 2, s[48:49]
	v_mov_b64_e32 v[6:7], v[2:3]
	v_add_nc_u64_e32 v[8:9], s[48:49], v[2:3]
	v_add_nc_u64_e32 v[10:11], s[6:7], v[2:3]
	v_cmp_gt_u32_e64 s1, 64, v0
	v_add_nc_u64_e32 v[12:13], 4, v[12:13]
	v_cmp_gt_u32_e64 s3, 32, v0
	v_cmp_gt_i32_e64 s4, s24, v0
	v_not_b32_e32 v29, v0
	v_or_b32_e32 v1, 0x100, v0
	v_dual_mov_b32 v5, v4 :: v_dual_mov_b32 v31, 1.0
	v_dual_mov_b32 v32, 1 :: v_dual_mov_b32 v33, 8
	s_lshl_b64 s[26:27], s[26:27], 2
	s_add_nc_u64 s[58:59], s[56:57], s[58:59]
	s_add_nc_u64 s[30:31], s[30:31], s[26:27]
	;; [unrolled: 1-line block ×5, first 2 shown]
	s_lshl_b32 s25, s24, 1
	s_add_nc_u64 s[28:29], s[6:7], 8
	s_mov_b64 s[66:67], 0x3fb999999999999a
	s_mov_b64 s[68:69], 0x41dfffffff800000
	s_add_nc_u64 s[70:71], s[48:49], 4
	s_mov_b32 s72, s37
	s_mov_b32 s43, 0
                                        ; implicit-def: $sgpr11
                                        ; implicit-def: $vgpr35
                                        ; implicit-def: $sgpr75
                                        ; implicit-def: $sgpr100
                                        ; implicit-def: $sgpr45
	s_branch .LBB8_17
.LBB8_15:                               ;   in Loop: Header=BB8_17 Depth=1
	global_load_b32 v14, v3, s[40:41] offset:-4
	s_mov_b32 s43, s36
	s_mov_b32 s11, s89
.LBB8_16:                               ;   in Loop: Header=BB8_17 Depth=1
	s_add_co_i32 s72, s72, 1
	s_wait_loadcnt 0x0
	v_cmp_ge_i32_e32 vcc_lo, s72, v14
	s_cbranch_vccnz .LBB8_276
.LBB8_17:                               ; =>This Loop Header: Depth=1
                                        ;     Child Loop BB8_22 Depth 2
                                        ;     Child Loop BB8_26 Depth 2
                                        ;       Child Loop BB8_36 Depth 3
                                        ;       Child Loop BB8_39 Depth 3
	;; [unrolled: 1-line block ×5, first 2 shown]
                                        ;         Child Loop BB8_111 Depth 4
                                        ;         Child Loop BB8_117 Depth 4
	;; [unrolled: 1-line block ×5, first 2 shown]
                                        ;           Child Loop BB8_137 Depth 5
                                        ;         Child Loop BB8_155 Depth 4
                                        ;           Child Loop BB8_156 Depth 5
                                        ;           Child Loop BB8_158 Depth 5
                                        ;         Child Loop BB8_163 Depth 4
                                        ;       Child Loop BB8_206 Depth 3
                                        ;       Child Loop BB8_245 Depth 3
	;; [unrolled: 1-line block ×5, first 2 shown]
	s_cmp_eq_u32 s72, 0
	s_wait_xcnt 0x0
	s_mov_b64 s[6:7], 0
	s_mov_b32 s74, s37
	s_cbranch_scc1 .LBB8_19
; %bb.18:                               ;   in Loop: Header=BB8_17 Depth=1
	v_mov_b32_e32 v2, s72
	s_mov_b32 s73, s37
	s_delay_alu instid0(SALU_CYCLE_1)
	s_mov_b64 s[6:7], s[72:73]
	global_load_b32 v2, v2, s[38:39] offset:-4 scale_offset
	s_wait_loadcnt 0x0
	v_readfirstlane_b32 s74, v2
.LBB8_19:                               ;   in Loop: Header=BB8_17 Depth=1
	s_lshl_b64 s[6:7], s[6:7], 2
	s_delay_alu instid0(VALU_DEP_1)
	s_not_b32 s5, s74
	s_add_nc_u64 s[6:7], s[38:39], s[6:7]
	global_load_b32 v2, v3, s[6:7]
	s_wait_loadcnt 0x0
	v_readfirstlane_b32 s76, v2
	v_subrev_nc_u32_e32 v34, s74, v2
	s_add_co_i32 s78, s5, s76
	s_delay_alu instid0(SALU_CYCLE_1) | instskip(SKIP_1) | instid1(SALU_CYCLE_1)
	s_cmp_lt_i32 s78, 1
	s_cselect_b32 s73, -1, 0
	s_and_b32 vcc_lo, exec_lo, s73
	s_cbranch_vccnz .LBB8_24
; %bb.20:                               ;   in Loop: Header=BB8_17 Depth=1
	v_dual_mov_b32 v2, s76 :: v_dual_mov_b32 v15, s74
	s_add_co_i32 s5, s76, -2
	s_clause 0x1
	global_load_b32 v16, v2, s[16:17] offset:-4 scale_offset
	global_load_b32 v18, v15, s[16:17] scale_offset
	s_clause 0x1
	global_load_b32 v2, v2, s[20:21] offset:-8 scale_offset
	global_load_b32 v15, v15, s[20:21] scale_offset
	s_wait_loadcnt 0x3
	v_and_b32_e32 v17, 0x7fffffff, v16
	s_wait_loadcnt 0x2
	v_and_b32_e32 v16, 0x7fffffff, v18
	;; [unrolled: 2-line block ×4, first 2 shown]
	v_readfirstlane_b32 s10, v15
	s_delay_alu instid0(VALU_DEP_2) | instskip(NEXT) | instid1(VALU_DEP_1)
	v_pk_add_f32 v[16:17], v[16:17], v[18:19]
	v_readfirstlane_b32 s6, v16
	s_delay_alu instid0(VALU_DEP_2)
	v_readfirstlane_b32 s7, v17
	s_cmp_lt_f32 s6, s7
	s_cselect_b32 s45, s7, s6
	s_cmp_ge_i32 s74, s5
	s_cbranch_scc1 .LBB8_23
; %bb.21:                               ;   in Loop: Header=BB8_17 Depth=1
	s_ashr_i32 s75, s74, 31
	s_mov_b32 s12, s74
	s_lshl_b64 s[8:9], s[74:75], 2
	s_delay_alu instid0(SALU_CYCLE_1)
	s_add_nc_u64 s[6:7], s[62:63], s[8:9]
	s_add_nc_u64 s[8:9], s[64:65], s[8:9]
.LBB8_22:                               ;   Parent Loop BB8_17 Depth=1
                                        ; =>  This Inner Loop Header: Depth=2
	s_clause 0x1
	global_load_b32 v2, v3, s[8:9]
	global_load_b32 v15, v3, s[6:7]
	s_and_b32 s27, s10, 0x7fffffff
	s_add_co_i32 s12, s12, 1
	s_wait_xcnt 0x0
	s_add_nc_u64 s[6:7], s[6:7], 4
	s_add_nc_u64 s[8:9], s[8:9], 4
	s_wait_loadcnt 0x1
	v_readfirstlane_b32 s26, v2
	s_wait_loadcnt 0x0
	v_readfirstlane_b32 s10, v15
	s_bitset0_b32 s26, 31
	s_delay_alu instid0(SALU_CYCLE_1) | instskip(SKIP_1) | instid1(SALU_CYCLE_2)
	s_add_f32 s26, s27, s26
	s_and_b32 s27, s10, 0x7fffffff
	s_add_f32 s26, s26, s27
	s_delay_alu instid0(SALU_CYCLE_3)
	s_cmp_lt_f32 s45, s26
	s_cselect_b32 s45, s26, s45
	s_cmp_lt_i32 s12, s5
	s_cbranch_scc1 .LBB8_22
.LBB8_23:                               ;   in Loop: Header=BB8_17 Depth=1
	v_cvt_f64_u32_e32 v[16:17], v34
	s_mul_f32 s75, s45, 0x3a83126f
	s_mov_b32 s100, s43
	s_delay_alu instid0(VALU_DEP_1) | instskip(SKIP_1) | instid1(VALU_DEP_2)
	v_div_scale_f64 v[18:19], null, v[16:17], v[16:17], s[66:67]
	v_div_scale_f64 v[24:25], vcc_lo, s[66:67], v[16:17], s[66:67]
	v_rcp_f64_e32 v[20:21], v[18:19]
	v_nop
	s_delay_alu instid0(TRANS32_DEP_1) | instskip(NEXT) | instid1(VALU_DEP_1)
	v_fma_f64 v[22:23], -v[18:19], v[20:21], 1.0
	v_fmac_f64_e32 v[20:21], v[20:21], v[22:23]
	s_delay_alu instid0(VALU_DEP_1) | instskip(NEXT) | instid1(VALU_DEP_1)
	v_fma_f64 v[22:23], -v[18:19], v[20:21], 1.0
	v_fmac_f64_e32 v[20:21], v[20:21], v[22:23]
	s_delay_alu instid0(VALU_DEP_1) | instskip(NEXT) | instid1(VALU_DEP_1)
	v_mul_f64_e32 v[22:23], v[24:25], v[20:21]
	v_fma_f64 v[18:19], -v[18:19], v[22:23], v[24:25]
	s_delay_alu instid0(VALU_DEP_1) | instskip(NEXT) | instid1(VALU_DEP_1)
	v_div_fmas_f64 v[18:19], v[18:19], v[20:21], v[22:23]
	v_div_fixup_f64 v[16:17], v[18:19], v[16:17], s[66:67]
	s_delay_alu instid0(VALU_DEP_1) | instskip(SKIP_2) | instid1(SALU_CYCLE_1)
	v_cmp_gt_f64_e32 vcc_lo, 0x10000000, v[16:17]
	s_and_b32 s5, vcc_lo, exec_lo
	s_cselect_b32 s5, 0x100, 0
	v_ldexp_f64 v[16:17], v[16:17], s5
	s_cselect_b32 s5, 0xffffff80, 0
	s_delay_alu instid0(VALU_DEP_1) | instskip(SKIP_1) | instid1(TRANS32_DEP_1)
	v_rsq_f64_e32 v[18:19], v[16:17]
	v_cmp_class_f64_e64 vcc_lo, v[16:17], 0x260
	v_mul_f64_e32 v[20:21], v[16:17], v[18:19]
	v_mul_f64_e32 v[18:19], 0.5, v[18:19]
	s_delay_alu instid0(VALU_DEP_1) | instskip(NEXT) | instid1(VALU_DEP_1)
	v_fma_f64 v[22:23], -v[18:19], v[20:21], 0.5
	v_fmac_f64_e32 v[20:21], v[20:21], v[22:23]
	v_fmac_f64_e32 v[18:19], v[18:19], v[22:23]
	s_delay_alu instid0(VALU_DEP_2) | instskip(NEXT) | instid1(VALU_DEP_1)
	v_fma_f64 v[22:23], -v[20:21], v[20:21], v[16:17]
	v_fmac_f64_e32 v[20:21], v[22:23], v[18:19]
	s_delay_alu instid0(VALU_DEP_1) | instskip(NEXT) | instid1(VALU_DEP_1)
	v_fma_f64 v[22:23], -v[20:21], v[20:21], v[16:17]
	v_fmac_f64_e32 v[20:21], v[22:23], v[18:19]
	s_delay_alu instid0(VALU_DEP_1) | instskip(NEXT) | instid1(VALU_DEP_1)
	v_ldexp_f64 v[18:19], v[20:21], s5
	v_dual_cndmask_b32 v17, v19, v17 :: v_dual_cndmask_b32 v16, v18, v16
	s_delay_alu instid0(VALU_DEP_1)
	v_cvt_f32_f64_e32 v35, v[16:17]
.LBB8_24:                               ;   in Loop: Header=BB8_17 Depth=1
	s_cmp_ge_i32 s43, s44
	s_cbranch_scc1 .LBB8_16
; %bb.25:                               ;   in Loop: Header=BB8_17 Depth=1
	s_wait_xcnt 0x1
	v_dual_add_nc_u32 v2, s76, v29 :: v_dual_add_nc_u32 v14, s74, v0
	v_cvt_f32_u32_e32 v17, v34
	s_ashr_i32 s77, s76, 31
	s_add_co_i32 s26, s78, s42
	s_delay_alu instid0(VALU_DEP_2)
	v_subrev_nc_u32_e32 v2, s74, v2
	s_lshl_b64 s[8:9], s[76:77], 2
	s_ashr_i32 s27, s26, 31
	s_add_nc_u64 s[80:81], s[16:17], s[8:9]
	s_lshl_b64 s[8:9], s[26:27], 2
	s_wait_xcnt 0x0
	v_dual_lshrrev_b32 v15, 8, v2 :: v_dual_mul_f32 v37, s45, v17
	s_mov_b32 s79, s37
	v_cmp_ge_i32_e64 s5, s78, v0
	v_cmp_gt_i32_e64 s6, s78, v0
	s_delay_alu instid0(VALU_DEP_3) | instskip(SKIP_3) | instid1(VALU_DEP_3)
	v_dual_add_nc_u32 v16, 1, v15 :: v_dual_ashrrev_i32 v15, 31, v14
	s_add_nc_u64 s[82:83], s[48:49], s[8:9]
	v_cmp_lt_u32_e64 s7, 2, v34
	v_cmp_lt_u32_e64 s8, v0, v34
	v_and_b32_e32 v36, 0x1fffffe, v16
	v_lshlrev_b64_e32 v[18:19], 2, v[14:15]
	v_cmp_lt_u32_e64 s9, 0xff, v2
	s_lshl_b64 s[26:27], s[78:79], 2
	s_add_co_i32 s77, s78, -1
	v_cmp_ne_u32_e64 s10, v16, v36
	v_lshl_or_b32 v14, v36, 8, v0
	s_add_nc_u64 s[84:85], s[30:31], s[26:27]
	v_add_nc_u64_e32 v[16:17], s[16:17], v[18:19]
	v_add_nc_u64_e32 v[18:19], s[20:21], v[18:19]
	s_add_nc_u64 s[86:87], s[52:53], s[26:27]
	s_sub_co_i32 s79, s76, s74
	s_mov_b32 s102, 0
	s_sub_co_i32 s101, 0, s74
	s_mul_i32 s103, s13, s43
	s_mov_b32 s88, s43
.LBB8_26:                               ;   Parent Loop BB8_17 Depth=1
                                        ; =>  This Loop Header: Depth=2
                                        ;       Child Loop BB8_36 Depth 3
                                        ;       Child Loop BB8_39 Depth 3
                                        ;       Child Loop BB8_45 Depth 3
                                        ;       Child Loop BB8_71 Depth 3
                                        ;       Child Loop BB8_73 Depth 3
                                        ;         Child Loop BB8_111 Depth 4
                                        ;         Child Loop BB8_117 Depth 4
	;; [unrolled: 1-line block ×5, first 2 shown]
                                        ;           Child Loop BB8_137 Depth 5
                                        ;         Child Loop BB8_155 Depth 4
                                        ;           Child Loop BB8_156 Depth 5
                                        ;           Child Loop BB8_158 Depth 5
                                        ;         Child Loop BB8_163 Depth 4
                                        ;       Child Loop BB8_206 Depth 3
                                        ;       Child Loop BB8_245 Depth 3
	;; [unrolled: 1-line block ×5, first 2 shown]
	s_delay_alu instid0(SALU_CYCLE_1) | instskip(SKIP_4) | instid1(VALU_DEP_1)
	v_mov_b32_e32 v2, s88
	s_mov_b32 s12, -1
	global_load_b32 v2, v2, s[18:19] scale_offset
	s_wait_loadcnt 0x0
	v_add_nc_u32_e32 v2, -1, v2
	v_cmp_ne_u32_e32 vcc_lo, s72, v2
	s_cbranch_vccnz .LBB8_30
; %bb.27:                               ;   in Loop: Header=BB8_26 Depth=2
	s_ashr_i32 s89, s88, 31
	s_and_b32 vcc_lo, exec_lo, s73
	s_lshl_b64 s[26:27], s[88:89], 2
	s_delay_alu instid0(SALU_CYCLE_1)
	s_add_nc_u64 s[26:27], s[14:15], s[26:27]
	global_load_b32 v2, v3, s[26:27]
	s_wait_loadcnt 0x0
	v_readfirstlane_b32 s89, v2
	s_cbranch_vccnz .LBB8_31
; %bb.28:                               ;   in Loop: Header=BB8_26 Depth=2
	s_and_b32 vcc_lo, exec_lo, s12
	s_cbranch_vccnz .LBB8_34
.LBB8_29:                               ;   in Loop: Header=BB8_26 Depth=2
	s_wait_storecnt_dscnt 0x0
	s_wait_xcnt 0x0
	s_and_saveexec_b32 s12, s4
	s_cbranch_execnz .LBB8_270
	s_branch .LBB8_274
.LBB8_30:                               ;   in Loop: Header=BB8_26 Depth=2
	s_mov_b32 s36, s88
	s_mov_b32 s89, s11
                                        ; implicit-def: $sgpr102
                                        ; implicit-def: $sgpr103
	s_and_b32 vcc_lo, exec_lo, s12
	s_cbranch_vccz .LBB8_275
	s_branch .LBB8_15
.LBB8_31:                               ;   in Loop: Header=BB8_26 Depth=2
	s_wait_xcnt 0x0
	s_and_saveexec_b32 s12, s2
	s_cbranch_execz .LBB8_33
; %bb.32:                               ;   in Loop: Header=BB8_26 Depth=2
	global_store_b32 v3, v31, s[48:49]
.LBB8_33:                               ;   in Loop: Header=BB8_26 Depth=2
	s_wait_xcnt 0x0
	s_or_b32 exec_lo, exec_lo, s12
	s_wait_storecnt_dscnt 0x0
	s_barrier_signal -1
	s_barrier_wait -1
	s_branch .LBB8_29
.LBB8_34:                               ;   in Loop: Header=BB8_26 Depth=2
	s_wait_xcnt 0x0
	s_and_saveexec_b32 s12, s5
	s_cbranch_execz .LBB8_37
; %bb.35:                               ;   in Loop: Header=BB8_26 Depth=2
	s_mul_i32 s26, s72, s44
	s_mov_b32 s36, 0
	s_add_co_i32 s26, s88, s26
	s_delay_alu instid0(SALU_CYCLE_1) | instskip(NEXT) | instid1(VALU_DEP_1)
	v_lshl_or_b32 v2, s26, 8, v0
	v_add_nc_u32_e32 v15, 1, v2
	v_sub_nc_u32_e32 v22, 0x7ffffffe, v2
	s_delay_alu instid0(VALU_DEP_2) | instskip(NEXT) | instid1(VALU_DEP_2)
	v_mul_hi_i32 v20, 0x40000001, v15
	v_cmp_gt_u32_e32 vcc_lo, 0x7fffff07, v22
	s_delay_alu instid0(VALU_DEP_2) | instskip(NEXT) | instid1(VALU_DEP_1)
	v_dual_lshrrev_b32 v21, 31, v20 :: v_dual_ashrrev_i32 v20, 29, v20
	v_add_nc_u32_e32 v20, v20, v21
	v_sub_nc_u32_e32 v21, 0xf7, v2
	s_delay_alu instid0(VALU_DEP_2) | instskip(NEXT) | instid1(VALU_DEP_2)
	v_mul_lo_u32 v20, 0x7fffffff, v20
	v_max_u32_e32 v21, 1, v21
	s_delay_alu instid0(VALU_DEP_1) | instskip(SKIP_1) | instid1(VALU_DEP_4)
	v_cndmask_b32_e32 v22, v21, v22, vcc_lo
	v_cmp_ne_u32_e32 vcc_lo, 0x7ffffffe, v2
	v_dual_mov_b32 v2, v0 :: v_dual_sub_nc_u32 v23, v15, v20
	v_mov_b64_e32 v[20:21], v[8:9]
	s_delay_alu instid0(VALU_DEP_2)
	v_dual_cndmask_b32 v15, 1, v22 :: v_dual_max_i32 v22, 1, v23
.LBB8_36:                               ;   Parent Loop BB8_17 Depth=1
                                        ;     Parent Loop BB8_26 Depth=2
                                        ; =>    This Inner Loop Header: Depth=3
	s_delay_alu instid0(VALU_DEP_1) | instskip(NEXT) | instid1(VALU_DEP_2)
	v_mul_hi_i32 v23, 0x5e4789c9, v22
	v_mul_hi_i32 v24, 0x4f7a09cd, v15
	v_add_nc_u32_e32 v2, 0x100, v2
	s_delay_alu instid0(VALU_DEP_3) | instskip(NEXT) | instid1(VALU_DEP_3)
	v_dual_lshrrev_b32 v25, 31, v23 :: v_dual_ashrrev_i32 v23, 14, v23
	v_dual_lshrrev_b32 v26, 31, v24 :: v_dual_ashrrev_i32 v24, 14, v24
	s_delay_alu instid0(VALU_DEP_1) | instskip(NEXT) | instid1(VALU_DEP_1)
	v_dual_add_nc_u32 v23, v23, v25 :: v_dual_add_nc_u32 v24, v24, v26
	v_mul_i32_i24_e32 v25, 0xadc8, v23
	v_mul_i32_i24_e32 v23, 0xfffff2b9, v23
	s_delay_alu instid0(VALU_DEP_3) | instskip(SKIP_1) | instid1(VALU_DEP_2)
	v_mul_i32_i24_e32 v26, 0xce26, v24
	v_mul_i32_i24_e32 v24, 0xfffff131, v24
	v_dual_sub_nc_u32 v22, v22, v25 :: v_dual_sub_nc_u32 v15, v15, v26
	s_delay_alu instid0(VALU_DEP_1) | instskip(NEXT) | instid1(VALU_DEP_2)
	v_mad_u32 v22, 0xbc8f, v22, v23
	v_mad_u32 v15, 0x9ef4, v15, v24
	s_delay_alu instid0(VALU_DEP_1) | instskip(NEXT) | instid1(VALU_DEP_1)
	v_dual_ashrrev_i32 v23, 31, v22 :: v_dual_ashrrev_i32 v24, 31, v15
	v_and_b32_e32 v23, 0x7fffffff, v23
	s_delay_alu instid0(VALU_DEP_2) | instskip(NEXT) | instid1(VALU_DEP_1)
	v_and_b32_e32 v24, 0x7fffff07, v24
	v_dual_add_nc_u32 v22, v23, v22 :: v_dual_add_nc_u32 v15, v24, v15
	s_delay_alu instid0(VALU_DEP_1) | instskip(NEXT) | instid1(VALU_DEP_1)
	v_sub_nc_u32_e32 v23, v22, v15
	v_ashrrev_i32_e32 v24, 31, v23
	s_delay_alu instid0(VALU_DEP_1) | instskip(NEXT) | instid1(VALU_DEP_1)
	v_and_b32_e32 v24, 0x7fffffff, v24
	v_add_nc_u32_e32 v23, v24, v23
	s_delay_alu instid0(VALU_DEP_1) | instskip(NEXT) | instid1(VALU_DEP_1)
	v_cvt_f64_i32_e32 v[24:25], v23
	v_div_scale_f64 v[26:27], null, s[68:69], s[68:69], v[24:25]
	v_div_scale_f64 v[42:43], vcc_lo, v[24:25], s[68:69], v[24:25]
	s_delay_alu instid0(VALU_DEP_2) | instskip(SKIP_1) | instid1(TRANS32_DEP_1)
	v_rcp_f64_e32 v[38:39], v[26:27]
	v_nop
	v_fma_f64 v[40:41], -v[26:27], v[38:39], 1.0
	s_delay_alu instid0(VALU_DEP_1) | instskip(NEXT) | instid1(VALU_DEP_1)
	v_fmac_f64_e32 v[38:39], v[38:39], v[40:41]
	v_fma_f64 v[40:41], -v[26:27], v[38:39], 1.0
	s_delay_alu instid0(VALU_DEP_1) | instskip(NEXT) | instid1(VALU_DEP_1)
	v_fmac_f64_e32 v[38:39], v[38:39], v[40:41]
	v_mul_f64_e32 v[40:41], v[42:43], v[38:39]
	s_delay_alu instid0(VALU_DEP_1) | instskip(NEXT) | instid1(VALU_DEP_1)
	v_fma_f64 v[26:27], -v[26:27], v[40:41], v[42:43]
	v_div_fmas_f64 v[26:27], v[26:27], v[38:39], v[40:41]
	v_cmp_lt_i32_e32 vcc_lo, s78, v2
	s_or_b32 s36, vcc_lo, s36
	s_delay_alu instid0(VALU_DEP_2) | instskip(NEXT) | instid1(VALU_DEP_1)
	v_div_fixup_f64 v[24:25], v[26:27], s[68:69], v[24:25]
	v_cvt_f32_f64_e32 v23, v[24:25]
	global_store_b32 v[20:21], v23, off
	s_wait_xcnt 0x0
	v_add_nc_u64_e32 v[20:21], 0x400, v[20:21]
	s_and_not1_b32 exec_lo, exec_lo, s36
	s_cbranch_execnz .LBB8_36
.LBB8_37:                               ;   in Loop: Header=BB8_26 Depth=2
	s_or_b32 exec_lo, exec_lo, s12
	s_and_saveexec_b32 s12, s6
	s_cbranch_execz .LBB8_40
; %bb.38:                               ;   in Loop: Header=BB8_26 Depth=2
	v_mov_b64_e32 v[20:21], v[18:19]
	v_mov_b64_e32 v[22:23], v[16:17]
	;; [unrolled: 1-line block ×4, first 2 shown]
	v_mov_b32_e32 v2, v0
	s_mov_b32 s36, 0
.LBB8_39:                               ;   Parent Loop BB8_17 Depth=1
                                        ;     Parent Loop BB8_26 Depth=2
                                        ; =>    This Inner Loop Header: Depth=3
	global_load_b32 v15, v[22:23], off
	v_add_nc_u32_e32 v38, s25, v2
	v_add_nc_u32_e32 v2, 0x100, v2
	s_wait_xcnt 0x0
	v_add_nc_u64_e32 v[22:23], 0x400, v[22:23]
	s_delay_alu instid0(VALU_DEP_2)
	v_cmp_le_i32_e32 vcc_lo, s78, v2
	s_or_b32 s36, vcc_lo, s36
	s_wait_loadcnt 0x0
	global_store_b32 v[26:27], v15, off
	global_load_b32 v15, v[20:21], off
	v_add_nc_u64_e32 v[26:27], 0x400, v[26:27]
	s_wait_xcnt 0x0
	v_add_nc_u64_e32 v[20:21], 0x400, v[20:21]
	s_wait_loadcnt 0x0
	global_store_b32 v38, v15, s[48:49] scale_offset
	global_store_b32 v[24:25], v15, off
	s_wait_xcnt 0x0
	v_add_nc_u64_e32 v[24:25], 0x400, v[24:25]
	s_and_not1_b32 exec_lo, exec_lo, s36
	s_cbranch_execnz .LBB8_39
.LBB8_40:                               ;   in Loop: Header=BB8_26 Depth=2
	s_or_b32 exec_lo, exec_lo, s12
	s_and_saveexec_b32 s12, s2
	s_cbranch_execz .LBB8_42
; %bb.41:                               ;   in Loop: Header=BB8_26 Depth=2
	global_load_b32 v2, v3, s[80:81] offset:-4
	s_wait_loadcnt 0x0
	global_store_b32 v3, v2, s[82:83]
.LBB8_42:                               ;   in Loop: Header=BB8_26 Depth=2
	s_wait_xcnt 0x0
	s_or_b32 exec_lo, exec_lo, s12
	s_mul_f32 s12, s22, s89
	s_cmp_lg_u32 s102, 0
	s_sub_f32 s26, s89, s11
	s_cselect_b32 s104, -1, 0
	s_bitset0_b32 s12, 31
	s_wait_storecnt_dscnt 0x0
	s_mul_f32 s27, s12, 0x41200000
	s_fmamk_f32 s12, s12, 0x41200000, s11
	s_barrier_signal -1
	s_barrier_wait -1
	s_cmp_lt_f32 s26, s27
	s_cselect_b32 s12, s12, s89
	s_cmp_eq_u32 s102, 0
	s_cselect_b32 s89, s89, s12
	s_and_saveexec_b32 s12, s2
	s_cbranch_execz .LBB8_69
; %bb.43:                               ;   in Loop: Header=BB8_26 Depth=2
	global_load_b32 v2, v3, s[52:53]
	s_mov_b64 s[90:91], 0
	s_mov_b32 s36, 1
	global_store_b32 v3, v3, s[84:85]
	s_wait_loadcnt 0x0
	v_subrev_f32_e32 v2, s89, v2
	s_clause 0x1
	global_store_b32 v3, v2, s[52:53]
	global_load_b32 v15, v3, s[56:57] offset:4
	s_wait_xcnt 0x1
	v_and_b32_e32 v2, 0x7fffffff, v2
	s_wait_loadcnt 0x0
	v_and_b32_e32 v15, 0x7fffffff, v15
	s_delay_alu instid0(VALU_DEP_1)
	v_add_f32_e32 v2, v2, v15
	s_branch .LBB8_45
.LBB8_44:                               ;   in Loop: Header=BB8_45 Depth=3
	s_add_co_i32 s36, s36, 1
	s_add_nc_u64 s[90:91], s[90:91], 4
	s_cmp_eq_u32 s79, s36
	s_cbranch_scc1 .LBB8_66
.LBB8_45:                               ;   Parent Loop BB8_17 Depth=1
                                        ;     Parent Loop BB8_26 Depth=2
                                        ; =>    This Inner Loop Header: Depth=3
	s_wait_xcnt 0x0
	s_add_nc_u64 s[96:97], s[52:53], s[90:91]
	s_add_nc_u64 s[92:93], s[58:59], s[90:91]
	global_load_b32 v15, v3, s[96:97] offset:4
	s_add_co_i32 s26, s36, -1
	s_add_nc_u64 s[94:95], s[56:57], s[90:91]
	s_cmp_lt_u32 s26, s77
	s_cselect_b32 vcc_hi, -1, 0
	s_cmp_ge_u32 s26, s77
	s_wait_loadcnt 0x0
	v_subrev_f32_e32 v20, s89, v15
	s_clause 0x1
	global_store_b32 v3, v20, s[96:97] offset:4
	global_load_b32 v22, v3, s[92:93]
	v_and_b32_e32 v15, 0x7fffffff, v20
	s_wait_loadcnt 0x0
	v_and_b32_e32 v23, 0x7fffffff, v22
	s_delay_alu instid0(VALU_DEP_1)
	v_add_f32_e32 v15, v15, v23
	s_cbranch_scc1 .LBB8_47
; %bb.46:                               ;   in Loop: Header=BB8_45 Depth=3
	global_load_b32 v21, v3, s[94:95] offset:8
	s_wait_loadcnt 0x0
	v_and_b32_e32 v21, 0x7fffffff, v21
	s_delay_alu instid0(VALU_DEP_1)
	v_add_f32_e32 v15, v15, v21
.LBB8_47:                               ;   in Loop: Header=BB8_45 Depth=3
	global_load_b32 v24, v3, s[96:97]
	s_wait_loadcnt 0x0
	v_cmp_eq_f32_e32 vcc_lo, 0, v24
	s_cbranch_vccnz .LBB8_58
; %bb.48:                               ;   in Loop: Header=BB8_45 Depth=3
	v_and_b32_e32 v21, 0x7fffffff, v24
	s_delay_alu instid0(VALU_DEP_1) | instskip(SKIP_1) | instid1(VALU_DEP_2)
	v_div_scale_f32 v25, null, v2, v2, v21
	v_div_scale_f32 v21, vcc_lo, v21, v2, v21
	v_rcp_f32_e32 v26, v25
	v_nop
	v_xor_b32_e32 v25, 0x80000000, v25
	s_delay_alu instid0(TRANS32_DEP_1) | instid1(VALU_DEP_1)
	v_fma_f32 v27, v25, v26, 1.0
	s_delay_alu instid0(VALU_DEP_1) | instskip(NEXT) | instid1(VALU_DEP_1)
	v_fmac_f32_e32 v26, v27, v26
	v_mul_f32_e32 v27, v21, v26
	s_delay_alu instid0(VALU_DEP_1) | instskip(NEXT) | instid1(VALU_DEP_1)
	v_fma_f32 v38, v25, v27, v21
	v_fmac_f32_e32 v27, v38, v26
	s_delay_alu instid0(VALU_DEP_1) | instskip(NEXT) | instid1(VALU_DEP_1)
	v_fmac_f32_e32 v21, v25, v27
	v_div_fmas_f32 v21, v21, v26, v27
	s_delay_alu instid0(VALU_DEP_1)
	v_div_fixup_f32 v21, v21, v2, |v24|
	v_cmp_neq_f32_e32 vcc_lo, 0, v22
	s_add_nc_u64 s[98:99], s[30:31], s[90:91]
	s_cbranch_vccz .LBB8_59
.LBB8_49:                               ;   in Loop: Header=BB8_45 Depth=3
	v_div_scale_f32 v25, null, v15, v15, v23
	v_div_scale_f32 v23, vcc_lo, v23, v15, v23
	s_mov_b32 s26, -1
	v_rcp_f32_e32 v26, v25
	v_nop
	v_xor_b32_e32 v25, 0x80000000, v25
	s_delay_alu instid0(TRANS32_DEP_1) | instid1(VALU_DEP_1)
	v_fma_f32 v27, v25, v26, 1.0
	s_delay_alu instid0(VALU_DEP_1) | instskip(NEXT) | instid1(VALU_DEP_1)
	v_fmac_f32_e32 v26, v27, v26
	v_mul_f32_e32 v27, v23, v26
	s_delay_alu instid0(VALU_DEP_1) | instskip(NEXT) | instid1(VALU_DEP_1)
	v_fma_f32 v38, v25, v27, v23
	v_fmac_f32_e32 v27, v38, v26
	s_delay_alu instid0(VALU_DEP_1) | instskip(NEXT) | instid1(VALU_DEP_1)
	v_fmac_f32_e32 v23, v25, v27
	v_div_fmas_f32 v23, v23, v26, v27
	s_delay_alu instid0(VALU_DEP_1) | instskip(NEXT) | instid1(VALU_DEP_1)
	v_div_fixup_f32 v23, v23, v15, |v22|
	v_cmp_nle_f32_e32 vcc_lo, v23, v21
	s_cbranch_vccnz .LBB8_53
; %bb.50:                               ;   in Loop: Header=BB8_45 Depth=3
	v_div_scale_f32 v25, null, v24, v24, v22
	v_div_scale_f32 v38, vcc_lo, v22, v24, v22
	s_delay_alu instid0(VALU_DEP_2)
	v_rcp_f32_e32 v26, v25
	v_nop
	v_xor_b32_e32 v25, 0x80000000, v25
	s_delay_alu instid0(TRANS32_DEP_1) | instid1(VALU_DEP_1)
	v_fma_f32 v27, v25, v26, 1.0
	s_delay_alu instid0(VALU_DEP_1) | instskip(NEXT) | instid1(VALU_DEP_1)
	v_fmac_f32_e32 v26, v27, v26
	v_mul_f32_e32 v27, v38, v26
	s_delay_alu instid0(VALU_DEP_1) | instskip(NEXT) | instid1(VALU_DEP_1)
	v_fma_f32 v39, v25, v27, v38
	v_fmac_f32_e32 v27, v39, v26
	s_delay_alu instid0(VALU_DEP_1) | instskip(NEXT) | instid1(VALU_DEP_1)
	v_fmac_f32_e32 v38, v25, v27
	v_div_fmas_f32 v25, v38, v26, v27
	s_and_not1_b32 vcc_lo, exec_lo, vcc_hi
	s_delay_alu instid0(VALU_DEP_1)
	v_div_fixup_f32 v25, v25, v24, v22
	s_clause 0x2
	global_store_b32 v3, v25, s[92:93]
	global_load_b32 v26, v3, s[96:97] offset:4
	global_load_b32 v27, v3, s[94:95] offset:4
	s_wait_xcnt 0x2
	v_xor_b32_e32 v25, 0x80000000, v25
	s_wait_loadcnt 0x0
	s_delay_alu instid0(VALU_DEP_1)
	v_fmac_f32_e32 v26, v25, v27
	s_clause 0x1
	global_store_b32 v3, v3, s[98:99]
	global_store_b32 v3, v26, s[96:97] offset:4
	s_cbranch_vccnz .LBB8_52
; %bb.51:                               ;   in Loop: Header=BB8_45 Depth=3
	s_add_nc_u64 s[26:27], s[60:61], s[90:91]
	global_store_b32 v3, v3, s[26:27]
.LBB8_52:                               ;   in Loop: Header=BB8_45 Depth=3
	s_wait_xcnt 0x0
	s_mov_b32 s26, 0
.LBB8_53:                               ;   in Loop: Header=BB8_45 Depth=3
	v_mov_b32_e32 v25, v15
	s_and_not1_b32 vcc_lo, exec_lo, s26
	s_cbranch_vccnz .LBB8_57
; %bb.54:                               ;   in Loop: Header=BB8_45 Depth=3
	s_clause 0x1
	global_store_b32 v3, v22, s[96:97]
	global_load_b32 v25, v3, s[94:95] offset:4
	v_div_scale_f32 v26, null, v22, v22, v24
	s_delay_alu instid0(VALU_DEP_1)
	v_rcp_f32_e32 v27, v26
	v_nop
	v_xor_b32_e32 v26, 0x80000000, v26
	s_delay_alu instid0(TRANS32_DEP_1) | instid1(VALU_DEP_1)
	v_fma_f32 v38, v26, v27, 1.0
	s_delay_alu instid0(VALU_DEP_1) | instskip(SKIP_1) | instid1(VALU_DEP_1)
	v_fmac_f32_e32 v27, v38, v27
	v_div_scale_f32 v38, vcc_lo, v24, v22, v24
	v_mul_f32_e32 v39, v38, v27
	s_delay_alu instid0(VALU_DEP_1) | instskip(NEXT) | instid1(VALU_DEP_1)
	v_fma_f32 v40, v26, v39, v38
	v_fmac_f32_e32 v39, v40, v27
	s_delay_alu instid0(VALU_DEP_1) | instskip(NEXT) | instid1(VALU_DEP_1)
	v_fmac_f32_e32 v38, v26, v39
	v_div_fmas_f32 v26, v38, v27, v39
	s_and_not1_b32 vcc_lo, exec_lo, vcc_hi
	s_wait_xcnt 0x1
	s_delay_alu instid0(VALU_DEP_1) | instskip(SKIP_2) | instid1(VALU_DEP_1)
	v_div_fixup_f32 v22, v26, v22, v24
	v_xor_b32_e32 v24, 0x80000000, v20
	s_wait_loadcnt 0x0
	v_fmac_f32_e32 v25, v24, v22
	s_clause 0x1
	global_store_b32 v3, v32, s[98:99]
	global_store_b32 v3, v25, s[96:97] offset:4
	s_cbranch_vccnz .LBB8_56
; %bb.55:                               ;   in Loop: Header=BB8_45 Depth=3
	global_load_b32 v24, v3, s[94:95] offset:8
	s_wait_xcnt 0x1
	v_xor_b32_e32 v25, 0x80000000, v22
	s_add_nc_u64 s[26:27], s[60:61], s[90:91]
	s_wait_loadcnt 0x0
	s_delay_alu instid0(VALU_DEP_1)
	v_mul_f32_e32 v25, v24, v25
	s_clause 0x1
	global_store_b32 v3, v24, s[26:27]
	global_store_b32 v3, v25, s[94:95] offset:8
.LBB8_56:                               ;   in Loop: Header=BB8_45 Depth=3
	s_wait_xcnt 0x0
	v_mov_b32_e32 v25, v2
	s_clause 0x1
	global_store_b32 v3, v20, s[94:95] offset:4
	global_store_b32 v3, v22, s[92:93]
.LBB8_57:                               ;   in Loop: Header=BB8_45 Depth=3
	s_delay_alu instid0(VALU_DEP_1)
	v_mov_b32_e32 v2, v25
	s_wait_xcnt 0x0
	s_cbranch_execz .LBB8_60
	s_branch .LBB8_63
.LBB8_58:                               ;   in Loop: Header=BB8_45 Depth=3
	v_mov_b32_e32 v21, 0
	v_cmp_neq_f32_e32 vcc_lo, 0, v22
	s_add_nc_u64 s[98:99], s[30:31], s[90:91]
	s_cbranch_vccnz .LBB8_49
.LBB8_59:                               ;   in Loop: Header=BB8_45 Depth=3
	s_wait_xcnt 0x1
                                        ; implicit-def: $vgpr23
                                        ; implicit-def: $vgpr2
.LBB8_60:                               ;   in Loop: Header=BB8_45 Depth=3
	s_and_not1_b32 vcc_lo, exec_lo, vcc_hi
	global_store_b32 v3, v3, s[98:99]
	s_cbranch_vccnz .LBB8_62
; %bb.61:                               ;   in Loop: Header=BB8_45 Depth=3
	s_add_nc_u64 s[26:27], s[60:61], s[90:91]
	global_store_b32 v3, v3, s[26:27]
.LBB8_62:                               ;   in Loop: Header=BB8_45 Depth=3
	v_dual_mov_b32 v23, 0 :: v_dual_mov_b32 v2, v15
.LBB8_63:                               ;   in Loop: Header=BB8_45 Depth=3
	s_delay_alu instid0(VALU_DEP_1) | instskip(NEXT) | instid1(VALU_DEP_1)
	v_dual_max_num_f32 v15, v23, v23 :: v_dual_max_num_f32 v20, v21, v21
	v_max_num_f32_e32 v15, v20, v15
	s_delay_alu instid0(VALU_DEP_1)
	v_cmp_nle_f32_e32 vcc_lo, v15, v30
	s_cbranch_vccnz .LBB8_44
; %bb.64:                               ;   in Loop: Header=BB8_45 Depth=3
	global_load_b32 v15, v3, s[84:85]
	s_wait_loadcnt 0x0
	v_cmp_ne_u32_e32 vcc_lo, 0, v15
	s_cbranch_vccnz .LBB8_44
; %bb.65:                               ;   in Loop: Header=BB8_45 Depth=3
	v_mov_b32_e32 v15, s36
	global_store_b32 v3, v15, s[84:85]
	s_branch .LBB8_44
.LBB8_66:                               ;   in Loop: Header=BB8_26 Depth=2
	global_load_b32 v15, v3, s[86:87]
	v_mul_f32_e32 v2, v30, v2
	s_wait_loadcnt 0x0
	v_and_b32_e32 v15, 0x7fffffff, v15
	s_delay_alu instid0(VALU_DEP_1)
	v_cmp_le_f32_e32 vcc_lo, v15, v2
	s_cbranch_vccz .LBB8_69
; %bb.67:                               ;   in Loop: Header=BB8_26 Depth=2
	global_load_b32 v2, v3, s[84:85]
	s_wait_loadcnt 0x0
	v_cmp_ne_u32_e32 vcc_lo, 0, v2
	s_cbranch_vccnz .LBB8_69
; %bb.68:                               ;   in Loop: Header=BB8_26 Depth=2
	global_store_b32 v3, v34, s[84:85]
.LBB8_69:                               ;   in Loop: Header=BB8_26 Depth=2
	s_wait_xcnt 0x0
	s_or_b32 exec_lo, exec_lo, s12
	s_sub_f32 s11, s89, s11
	s_mov_b32 s96, 0
	s_mov_b32 s98, 0
	s_delay_alu instid0(SALU_CYCLE_1) | instskip(NEXT) | instid1(SALU_CYCLE_1)
	s_bitset0_b32 s11, 31
	s_cmp_gt_f32 s11, s75
	s_cselect_b32 s97, -1, 0
	v_mov_b32_e32 v2, 0
	v_bfrev_b32_e32 v15, -2
	s_and_saveexec_b32 s12, s5
	s_cbranch_execz .LBB8_73
.LBB8_70:                               ;   in Loop: Header=BB8_26 Depth=2
	v_mov_b64_e32 v[20:21], v[8:9]
	v_dual_mov_b32 v2, 0 :: v_dual_mov_b32 v22, v0
	v_bfrev_b32_e32 v15, -2
	s_mov_b32 s36, 0
.LBB8_71:                               ;   Parent Loop BB8_17 Depth=1
                                        ;     Parent Loop BB8_26 Depth=2
                                        ; =>    This Inner Loop Header: Depth=3
	global_load_b32 v23, v[20:21], off
	v_cmp_eq_u32_e32 vcc_lo, 0x7fffffff, v15
	v_add_nc_u32_e32 v24, 1, v22
	s_wait_xcnt 0x0
	v_add_nc_u64_e32 v[20:21], 0x400, v[20:21]
	s_wait_loadcnt 0x0
	v_cmp_lt_f32_e64 s26, v2, |v23|
	s_or_b32 vcc_lo, s26, vcc_lo
	v_dual_cndmask_b32 v15, v15, v24 :: v_dual_add_nc_u32 v22, 0x100, v22
	v_cndmask_b32_e64 v2, v2, |v23|, vcc_lo
	s_delay_alu instid0(VALU_DEP_2) | instskip(SKIP_1) | instid1(SALU_CYCLE_1)
	v_cmp_lt_i32_e64 s11, s78, v22
	s_or_b32 s36, s11, s36
	s_and_not1_b32 exec_lo, exec_lo, s36
	s_cbranch_execnz .LBB8_71
; %bb.72:                               ;   in Loop: Header=BB8_26 Depth=2
	s_or_b32 exec_lo, exec_lo, s36
.LBB8_73:                               ;   Parent Loop BB8_17 Depth=1
                                        ;     Parent Loop BB8_26 Depth=2
                                        ; =>    This Loop Header: Depth=3
                                        ;         Child Loop BB8_111 Depth 4
                                        ;         Child Loop BB8_117 Depth 4
                                        ;         Child Loop BB8_120 Depth 4
                                        ;         Child Loop BB8_123 Depth 4
                                        ;         Child Loop BB8_130 Depth 4
                                        ;           Child Loop BB8_137 Depth 5
                                        ;         Child Loop BB8_155 Depth 4
                                        ;           Child Loop BB8_156 Depth 5
                                        ;           Child Loop BB8_158 Depth 5
                                        ;         Child Loop BB8_163 Depth 4
	s_delay_alu instid0(SALU_CYCLE_1)
	s_or_b32 exec_lo, exec_lo, s12
	ds_store_2addr_stride64_b32 v28, v2, v15 offset1:8
	s_wait_storecnt_dscnt 0x0
	s_barrier_signal -1
	s_barrier_wait -1
	s_and_saveexec_b32 s12, s0
	s_cbranch_execz .LBB8_79
; %bb.74:                               ;   in Loop: Header=BB8_73 Depth=3
	ds_load_2addr_stride64_b32 v[20:21], v28 offset0:2 offset1:10
	s_mov_b32 s90, exec_lo
	s_wait_dscnt 0x0
	v_cmp_lt_f32_e64 s36, v2, v20
	v_cmpx_nlt_f32_e32 v2, v20
; %bb.75:                               ;   in Loop: Header=BB8_73 Depth=3
	v_cmp_eq_f32_e32 vcc_lo, v2, v20
	v_cmp_gt_i32_e64 s11, v15, v21
	s_and_not1_b32 s26, s36, exec_lo
	s_and_b32 s11, vcc_lo, s11
	s_delay_alu instid0(SALU_CYCLE_1) | instskip(NEXT) | instid1(SALU_CYCLE_1)
	s_and_b32 s11, s11, exec_lo
	s_or_b32 s36, s26, s11
; %bb.76:                               ;   in Loop: Header=BB8_73 Depth=3
	s_or_b32 exec_lo, exec_lo, s90
	s_and_saveexec_b32 s11, s36
; %bb.77:                               ;   in Loop: Header=BB8_73 Depth=3
	v_dual_mov_b32 v15, v21 :: v_dual_mov_b32 v2, v20
	ds_store_2addr_stride64_b32 v28, v20, v21 offset1:8
; %bb.78:                               ;   in Loop: Header=BB8_73 Depth=3
	s_or_b32 exec_lo, exec_lo, s11
.LBB8_79:                               ;   in Loop: Header=BB8_73 Depth=3
	s_delay_alu instid0(SALU_CYCLE_1)
	s_or_b32 exec_lo, exec_lo, s12
	s_wait_dscnt 0x0
	s_barrier_signal -1
	s_barrier_wait -1
	s_and_saveexec_b32 s12, s1
	s_cbranch_execz .LBB8_85
; %bb.80:                               ;   in Loop: Header=BB8_73 Depth=3
	ds_load_2addr_stride64_b32 v[20:21], v28 offset0:1 offset1:9
	s_mov_b32 s90, exec_lo
	s_wait_dscnt 0x0
	v_cmp_lt_f32_e64 s36, v2, v20
	v_cmpx_nlt_f32_e32 v2, v20
; %bb.81:                               ;   in Loop: Header=BB8_73 Depth=3
	v_cmp_eq_f32_e32 vcc_lo, v2, v20
	v_cmp_gt_i32_e64 s11, v15, v21
	s_and_not1_b32 s26, s36, exec_lo
	s_and_b32 s11, vcc_lo, s11
	s_delay_alu instid0(SALU_CYCLE_1) | instskip(NEXT) | instid1(SALU_CYCLE_1)
	s_and_b32 s11, s11, exec_lo
	s_or_b32 s36, s26, s11
; %bb.82:                               ;   in Loop: Header=BB8_73 Depth=3
	s_or_b32 exec_lo, exec_lo, s90
	s_and_saveexec_b32 s11, s36
; %bb.83:                               ;   in Loop: Header=BB8_73 Depth=3
	v_dual_mov_b32 v15, v21 :: v_dual_mov_b32 v2, v20
	ds_store_2addr_stride64_b32 v28, v20, v21 offset1:8
; %bb.84:                               ;   in Loop: Header=BB8_73 Depth=3
	s_or_b32 exec_lo, exec_lo, s11
.LBB8_85:                               ;   in Loop: Header=BB8_73 Depth=3
	s_delay_alu instid0(SALU_CYCLE_1)
	s_or_b32 exec_lo, exec_lo, s12
	s_wait_dscnt 0x0
	s_barrier_signal -1
	s_barrier_wait -1
	s_and_saveexec_b32 s36, s3
	s_cbranch_execz .LBB8_108
; %bb.86:                               ;   in Loop: Header=BB8_73 Depth=3
	v_add_nc_u32_e32 v20, 0x80, v28
	s_mov_b32 s90, exec_lo
	ds_load_2addr_stride64_b32 v[20:21], v20 offset1:8
	s_wait_dscnt 0x0
	v_cmp_lt_f32_e64 s12, v2, v20
	v_cmpx_nlt_f32_e32 v2, v20
; %bb.87:                               ;   in Loop: Header=BB8_73 Depth=3
	v_cmp_eq_f32_e32 vcc_lo, v2, v20
	v_cmp_gt_i32_e64 s11, v15, v21
	s_and_not1_b32 s12, s12, exec_lo
	s_and_b32 s11, vcc_lo, s11
	s_delay_alu instid0(SALU_CYCLE_1) | instskip(NEXT) | instid1(SALU_CYCLE_1)
	s_and_b32 s11, s11, exec_lo
	s_or_b32 s12, s12, s11
; %bb.88:                               ;   in Loop: Header=BB8_73 Depth=3
	s_or_b32 exec_lo, exec_lo, s90
	s_and_saveexec_b32 s11, s12
; %bb.89:                               ;   in Loop: Header=BB8_73 Depth=3
	v_dual_mov_b32 v2, v20 :: v_dual_mov_b32 v15, v21
	ds_store_2addr_stride64_b32 v28, v20, v21 offset1:8
; %bb.90:                               ;   in Loop: Header=BB8_73 Depth=3
	s_or_b32 exec_lo, exec_lo, s11
	v_add_nc_u32_e32 v20, 64, v28
	s_mov_b32 s90, exec_lo
	ds_load_2addr_stride64_b32 v[20:21], v20 offset1:8
	s_wait_dscnt 0x0
	v_cmp_lt_f32_e64 s12, v2, v20
	v_cmpx_nlt_f32_e32 v2, v20
; %bb.91:                               ;   in Loop: Header=BB8_73 Depth=3
	v_cmp_eq_f32_e32 vcc_lo, v2, v20
	v_cmp_gt_i32_e64 s11, v15, v21
	s_and_not1_b32 s12, s12, exec_lo
	s_and_b32 s11, vcc_lo, s11
	s_delay_alu instid0(SALU_CYCLE_1) | instskip(NEXT) | instid1(SALU_CYCLE_1)
	s_and_b32 s11, s11, exec_lo
	s_or_b32 s12, s12, s11
; %bb.92:                               ;   in Loop: Header=BB8_73 Depth=3
	s_or_b32 exec_lo, exec_lo, s90
	s_and_saveexec_b32 s11, s12
; %bb.93:                               ;   in Loop: Header=BB8_73 Depth=3
	v_dual_mov_b32 v2, v20 :: v_dual_mov_b32 v15, v21
	ds_store_2addr_stride64_b32 v28, v20, v21 offset1:8
; %bb.94:                               ;   in Loop: Header=BB8_73 Depth=3
	s_or_b32 exec_lo, exec_lo, s11
	;; [unrolled: 22-line block ×3, first 2 shown]
	v_add_nc_u32_e32 v20, 16, v28
	s_mov_b32 s90, exec_lo
	ds_load_2addr_stride64_b32 v[20:21], v20 offset1:8
	s_wait_dscnt 0x0
	v_cmp_lt_f32_e64 s12, v2, v20
	v_cmpx_nlt_f32_e32 v2, v20
; %bb.99:                               ;   in Loop: Header=BB8_73 Depth=3
	v_cmp_eq_f32_e32 vcc_lo, v2, v20
	v_cmp_gt_i32_e64 s11, v15, v21
	s_and_not1_b32 s12, s12, exec_lo
	s_and_b32 s11, vcc_lo, s11
	s_delay_alu instid0(SALU_CYCLE_1) | instskip(NEXT) | instid1(SALU_CYCLE_1)
	s_and_b32 s11, s11, exec_lo
	s_or_b32 s12, s12, s11
; %bb.100:                              ;   in Loop: Header=BB8_73 Depth=3
	s_or_b32 exec_lo, exec_lo, s90
	s_and_saveexec_b32 s11, s12
; %bb.101:                              ;   in Loop: Header=BB8_73 Depth=3
	v_dual_mov_b32 v2, v20 :: v_dual_mov_b32 v15, v21
	ds_store_2addr_stride64_b32 v28, v20, v21 offset1:8
; %bb.102:                              ;   in Loop: Header=BB8_73 Depth=3
	s_or_b32 exec_lo, exec_lo, s11
	v_add_nc_u32_e32 v20, 8, v28
	s_mov_b32 s90, exec_lo
	ds_load_2addr_stride64_b32 v[20:21], v20 offset1:8
	s_wait_dscnt 0x0
	v_cmp_lt_f32_e64 s12, v2, v20
	v_cmpx_nlt_f32_e32 v2, v20
; %bb.103:                              ;   in Loop: Header=BB8_73 Depth=3
	v_cmp_eq_f32_e32 vcc_lo, v2, v20
	v_cmp_gt_i32_e64 s11, v15, v21
	s_and_not1_b32 s12, s12, exec_lo
	s_and_b32 s11, vcc_lo, s11
	s_delay_alu instid0(SALU_CYCLE_1) | instskip(NEXT) | instid1(SALU_CYCLE_1)
	s_and_b32 s11, s11, exec_lo
	s_or_b32 s12, s12, s11
; %bb.104:                              ;   in Loop: Header=BB8_73 Depth=3
	s_or_b32 exec_lo, exec_lo, s90
	s_and_saveexec_b32 s11, s12
; %bb.105:                              ;   in Loop: Header=BB8_73 Depth=3
	v_dual_mov_b32 v2, v20 :: v_dual_mov_b32 v15, v21
	ds_store_2addr_stride64_b32 v28, v20, v21 offset1:8
; %bb.106:                              ;   in Loop: Header=BB8_73 Depth=3
	s_or_b32 exec_lo, exec_lo, s11
	v_add_nc_u32_e32 v20, 4, v28
	ds_load_2addr_stride64_b32 v[20:21], v20 offset1:8
	s_wait_dscnt 0x0
	v_cmp_eq_f32_e32 vcc_lo, v2, v20
	v_cmp_gt_i32_e64 s11, v15, v21
	v_cmp_lt_f32_e64 s12, v2, v20
	s_and_b32 s11, vcc_lo, s11
	s_delay_alu instid0(SALU_CYCLE_1) | instskip(NEXT) | instid1(SALU_CYCLE_1)
	s_or_b32 s11, s12, s11
	s_and_b32 exec_lo, exec_lo, s11
; %bb.107:                              ;   in Loop: Header=BB8_73 Depth=3
	ds_store_2addr_stride64_b32 v28, v20, v21 offset1:8
.LBB8_108:                              ;   in Loop: Header=BB8_73 Depth=3
	s_or_b32 exec_lo, exec_lo, s36
	s_wait_dscnt 0x0
	s_barrier_signal -1
	s_barrier_wait -1
	s_and_saveexec_b32 s11, s5
	s_cbranch_execz .LBB8_118
; %bb.109:                              ;   in Loop: Header=BB8_73 Depth=3
	global_load_b32 v2, v3, s[82:83]
	ds_load_b32 v15, v33
	s_mov_b32 s36, -1
	s_wait_loadcnt 0x0
	v_and_b32_e32 v2, 0x7fffffff, v2
	s_delay_alu instid0(VALU_DEP_1) | instskip(SKIP_1) | instid1(VALU_DEP_1)
	v_cmp_lt_f32_e32 vcc_lo, s22, v2
	v_cndmask_b32_e32 v2, s22, v2, vcc_lo
	v_mul_f32_e32 v20, v37, v2
	s_wait_dscnt 0x0
	s_delay_alu instid0(VALU_DEP_1) | instskip(SKIP_1) | instid1(VALU_DEP_2)
	v_div_scale_f32 v2, null, v15, v15, v20
	v_div_scale_f32 v23, vcc_lo, v20, v15, v20
	v_rcp_f32_e32 v21, v2
	v_nop
	v_xor_b32_e32 v2, 0x80000000, v2
	s_delay_alu instid0(TRANS32_DEP_1) | instid1(VALU_DEP_1)
	v_fma_f32 v22, v2, v21, 1.0
	s_delay_alu instid0(VALU_DEP_1) | instskip(NEXT) | instid1(VALU_DEP_1)
	v_fmac_f32_e32 v21, v22, v21
	v_mul_f32_e32 v22, v23, v21
	s_delay_alu instid0(VALU_DEP_1) | instskip(NEXT) | instid1(VALU_DEP_1)
	v_fma_f32 v24, v2, v22, v23
	v_fmac_f32_e32 v22, v24, v21
	s_delay_alu instid0(VALU_DEP_1) | instskip(NEXT) | instid1(VALU_DEP_1)
	v_dual_fmac_f32 v23, v2, v22 :: v_dual_mov_b32 v2, v0
	v_div_fmas_f32 v21, v23, v21, v22
	v_mov_b64_e32 v[22:23], v[6:7]
	s_delay_alu instid0(VALU_DEP_2)
	v_div_fixup_f32 v20, v21, v15, v20
	s_and_saveexec_b32 s12, s9
	s_cbranch_execz .LBB8_115
; %bb.110:                              ;   in Loop: Header=BB8_73 Depth=3
	v_mov_b64_e32 v[22:23], v[0:1]
	s_delay_alu instid0(VALU_DEP_2)
	v_dual_mov_b32 v21, v20 :: v_dual_mov_b32 v15, v36
	s_mov_b32 s36, 0
.LBB8_111:                              ;   Parent Loop BB8_17 Depth=1
                                        ;     Parent Loop BB8_26 Depth=2
                                        ;       Parent Loop BB8_73 Depth=3
                                        ; =>      This Inner Loop Header: Depth=4
	s_delay_alu instid0(VALU_DEP_1) | instskip(SKIP_1) | instid1(VALU_DEP_2)
	v_dual_mov_b32 v2, v22 :: v_dual_add_nc_u32 v15, -2, v15
	v_add_nc_u32_e32 v22, 0x200, v22
	v_lshl_add_u64 v[24:25], v[2:3], 2, s[48:49]
	v_dual_mov_b32 v2, v23 :: v_dual_add_nc_u32 v23, 0x200, v23
	s_delay_alu instid0(VALU_DEP_4) | instskip(NEXT) | instid1(VALU_DEP_2)
	v_cmp_eq_u32_e32 vcc_lo, 0, v15
	v_lshl_add_u64 v[26:27], v[2:3], 2, s[48:49]
	s_clause 0x1
	global_load_b32 v38, v[24:25], off
	global_load_b32 v39, v[26:27], off
	s_or_b32 s36, vcc_lo, s36
	s_wait_loadcnt 0x0
	v_pk_mul_f32 v[38:39], v[20:21], v[38:39]
	s_clause 0x1
	global_store_b32 v[24:25], v38, off
	global_store_b32 v[26:27], v39, off
	s_wait_xcnt 0x0
	s_and_not1_b32 exec_lo, exec_lo, s36
	s_cbranch_execnz .LBB8_111
; %bb.112:                              ;   in Loop: Header=BB8_73 Depth=3
	s_or_b32 exec_lo, exec_lo, s36
	s_mov_b32 s36, 0
                                        ; implicit-def: $vgpr22_vgpr23
	s_and_saveexec_b32 s90, s10
; %bb.113:                              ;   in Loop: Header=BB8_73 Depth=3
	v_mov_b32_e32 v15, v3
	s_mov_b32 s36, exec_lo
	s_delay_alu instid0(VALU_DEP_1)
	v_lshlrev_b64_e32 v[22:23], 2, v[14:15]
; %bb.114:                              ;   in Loop: Header=BB8_73 Depth=3
	s_or_b32 exec_lo, exec_lo, s90
	v_mov_b32_e32 v2, v14
	s_or_not1_b32 s36, s36, exec_lo
.LBB8_115:                              ;   in Loop: Header=BB8_73 Depth=3
	s_or_b32 exec_lo, exec_lo, s12
	s_delay_alu instid0(SALU_CYCLE_1)
	s_and_b32 exec_lo, exec_lo, s36
	s_cbranch_execz .LBB8_118
; %bb.116:                              ;   in Loop: Header=BB8_73 Depth=3
	v_add_nc_u64_e32 v[22:23], s[48:49], v[22:23]
	s_mov_b32 s12, 0
.LBB8_117:                              ;   Parent Loop BB8_17 Depth=1
                                        ;     Parent Loop BB8_26 Depth=2
                                        ;       Parent Loop BB8_73 Depth=3
                                        ; =>      This Inner Loop Header: Depth=4
	global_load_b32 v15, v[22:23], off
	s_wait_loadcnt 0x0
	v_dual_mul_f32 v15, v20, v15 :: v_dual_add_nc_u32 v2, 0x100, v2
	s_delay_alu instid0(VALU_DEP_1) | instskip(SKIP_4) | instid1(SALU_CYCLE_1)
	v_cmp_lt_i32_e32 vcc_lo, s78, v2
	global_store_b32 v[22:23], v15, off
	s_wait_xcnt 0x0
	v_add_nc_u64_e32 v[22:23], 0x400, v[22:23]
	s_or_b32 s12, vcc_lo, s12
	s_and_not1_b32 exec_lo, exec_lo, s12
	s_cbranch_execnz .LBB8_117
.LBB8_118:                              ;   in Loop: Header=BB8_73 Depth=3
	s_or_b32 exec_lo, exec_lo, s11
	s_wait_storecnt 0x0
	s_barrier_signal -1
	s_barrier_wait -1
	s_and_saveexec_b32 s12, s2
	s_cbranch_execz .LBB8_151
; %bb.119:                              ;   in Loop: Header=BB8_73 Depth=3
	s_clause 0x1
	global_load_b64 v[20:21], v3, s[52:53]
	global_load_b32 v2, v3, s[56:57] offset:4
	s_and_not1_b32 vcc_lo, exec_lo, s7
	s_mov_b64 s[90:91], s[60:61]
	s_mov_b64 s[92:93], s[28:29]
	s_mov_b32 s36, s77
	s_wait_loadcnt 0x0
	v_max3_num_f32 v2, |v20|, |v21|, |v2|
	s_delay_alu instid0(VALU_DEP_1)
	v_readfirstlane_b32 s11, v2
	s_cbranch_vccnz .LBB8_121
.LBB8_120:                              ;   Parent Loop BB8_17 Depth=1
                                        ;     Parent Loop BB8_26 Depth=2
                                        ;       Parent Loop BB8_73 Depth=3
                                        ; =>      This Inner Loop Header: Depth=4
	s_add_nc_u64 s[26:27], s[92:93], s[50:51]
	s_clause 0x2
	global_load_b32 v2, v3, s[92:93]
	global_load_b32 v15, v3, s[90:91]
	;; [unrolled: 1-line block ×3, first 2 shown]
	s_add_co_i32 s36, s36, -1
	s_wait_xcnt 0x2
	s_add_nc_u64 s[92:93], s[92:93], 4
	s_cmp_lg_u32 s36, 0
	s_wait_xcnt 0x1
	s_add_nc_u64 s[90:91], s[90:91], 4
	s_wait_loadcnt 0x1
	v_max_num_f32_e64 v15, |v15|, |v15|
	s_wait_loadcnt 0x0
	v_max_num_f32_e64 v20, |v20|, |v20|
	s_delay_alu instid0(VALU_DEP_1) | instskip(NEXT) | instid1(VALU_DEP_1)
	v_max_num_f32_e32 v15, v20, v15
	v_max3_num_f32 v2, s11, |v2|, v15
	s_delay_alu instid0(VALU_DEP_1)
	v_readfirstlane_b32 s11, v2
	s_cbranch_scc1 .LBB8_120
.LBB8_121:                              ;   in Loop: Header=BB8_73 Depth=3
	s_mov_b32 s36, s78
	s_mov_b64 s[90:91], s[30:31]
	s_mov_b64 s[92:93], s[58:59]
	;; [unrolled: 1-line block ×3, first 2 shown]
	s_branch .LBB8_123
.LBB8_122:                              ;   in Loop: Header=BB8_123 Depth=4
	s_add_co_i32 s36, s36, -1
	s_wait_xcnt 0x0
	s_add_nc_u64 s[94:95], s[94:95], 4
	s_add_nc_u64 s[92:93], s[92:93], 4
	s_cmp_lg_u32 s36, 0
	s_add_nc_u64 s[90:91], s[90:91], 4
	s_cbranch_scc0 .LBB8_127
.LBB8_123:                              ;   Parent Loop BB8_17 Depth=1
                                        ;     Parent Loop BB8_26 Depth=2
                                        ;       Parent Loop BB8_73 Depth=3
                                        ; =>      This Inner Loop Header: Depth=4
	global_load_b32 v2, v3, s[90:91]
	s_wait_loadcnt 0x0
	v_cmp_ne_u32_e32 vcc_lo, 0, v2
	s_cbranch_vccz .LBB8_125
; %bb.124:                              ;   in Loop: Header=BB8_123 Depth=4
	global_load_b64 v[20:21], v3, s[94:95] offset:-4
	s_wait_loadcnt 0x0
	s_clause 0x1
	global_store_b32 v3, v21, s[94:95] offset:-4
	global_load_b32 v2, v3, s[92:93]
	v_xor_b32_e32 v15, 0x80000000, v21
	s_wait_loadcnt 0x0
	s_delay_alu instid0(VALU_DEP_1)
	v_fmac_f32_e32 v20, v15, v2
	global_store_b32 v3, v20, s[94:95]
	s_cbranch_execnz .LBB8_122
	s_branch .LBB8_126
.LBB8_125:                              ;   in Loop: Header=BB8_123 Depth=4
.LBB8_126:                              ;   in Loop: Header=BB8_123 Depth=4
	s_clause 0x1
	global_load_b32 v2, v3, s[92:93]
	global_load_b64 v[20:21], v3, s[94:95] offset:-4
	s_wait_loadcnt 0x1
	v_xor_b32_e32 v2, 0x80000000, v2
	s_wait_loadcnt 0x0
	s_delay_alu instid0(VALU_DEP_1)
	v_fmac_f32_e32 v21, v2, v20
	global_store_b32 v3, v21, s[94:95]
	s_branch .LBB8_122
.LBB8_127:                              ;   in Loop: Header=BB8_73 Depth=3
	s_mul_f32 s11, s22, s11
	s_mov_b32 s36, s78
	s_delay_alu instid0(SALU_CYCLE_2) | instskip(SKIP_1) | instid1(SALU_CYCLE_1)
	s_cmp_eq_f32 s11, 0
	s_cselect_b32 s94, s22, s11
	s_bitset0_b32 s94, 31
	s_delay_alu instid0(SALU_CYCLE_1)
	s_xor_b32 s95, s94, 0x80000000
	s_branch .LBB8_130
.LBB8_128:                              ;   in Loop: Header=BB8_130 Depth=4
	s_delay_alu instid0(VALU_DEP_1)
	v_mov_b32_e32 v20, v22
.LBB8_129:                              ;   in Loop: Header=BB8_130 Depth=4
	s_wait_xcnt 0x1
	s_delay_alu instid0(VALU_DEP_1)
	v_div_scale_f32 v2, null, v23, v23, v20
	s_add_co_i32 s11, s36, -1
	s_cmp_gt_i32 s36, 0
	s_mov_b32 s36, s11
	v_rcp_f32_e32 v15, v2
	v_nop
	v_xor_b32_e32 v2, 0x80000000, v2
	s_delay_alu instid0(TRANS32_DEP_1) | instid1(VALU_DEP_1)
	v_fma_f32 v21, v2, v15, 1.0
	s_delay_alu instid0(VALU_DEP_1) | instskip(SKIP_1) | instid1(VALU_DEP_1)
	v_fmac_f32_e32 v15, v21, v15
	v_div_scale_f32 v21, vcc_lo, v20, v23, v20
	v_mul_f32_e32 v22, v21, v15
	s_delay_alu instid0(VALU_DEP_1) | instskip(NEXT) | instid1(VALU_DEP_1)
	v_fma_f32 v24, v2, v22, v21
	v_fmac_f32_e32 v22, v24, v15
	s_delay_alu instid0(VALU_DEP_1) | instskip(NEXT) | instid1(VALU_DEP_1)
	v_fmac_f32_e32 v21, v2, v22
	v_div_fmas_f32 v2, v21, v15, v22
	s_delay_alu instid0(VALU_DEP_1)
	v_div_fixup_f32 v2, v2, v23, v20
	global_store_b32 v3, v2, s[90:91]
	s_cbranch_scc0 .LBB8_151
.LBB8_130:                              ;   Parent Loop BB8_17 Depth=1
                                        ;     Parent Loop BB8_26 Depth=2
                                        ;       Parent Loop BB8_73 Depth=3
                                        ; =>      This Loop Header: Depth=4
                                        ;           Child Loop BB8_137 Depth 5
	s_wait_xcnt 0x0
	v_mov_b32_e32 v2, s36
	s_lshl_b64 s[92:93], s[36:37], 2
	s_cmp_ge_i32 s36, s78
	s_add_nc_u64 s[90:91], s[48:49], s[92:93]
	global_load_b32 v20, v2, s[48:49] scale_offset
	s_cbranch_scc1 .LBB8_132
; %bb.131:                              ;   in Loop: Header=BB8_130 Depth=4
	s_add_nc_u64 s[26:27], s[56:57], s[92:93]
	s_clause 0x1
	global_load_b32 v2, v3, s[26:27] offset:4
	global_load_b32 v15, v3, s[90:91] offset:4
	s_wait_loadcnt 0x1
	v_xor_b32_e32 v2, 0x80000000, v2
	s_wait_loadcnt 0x0
	s_delay_alu instid0(VALU_DEP_1)
	v_fmac_f32_e32 v20, v2, v15
.LBB8_132:                              ;   in Loop: Header=BB8_130 Depth=4
	s_cmp_ge_i32 s36, s77
	s_cbranch_scc1 .LBB8_134
; %bb.133:                              ;   in Loop: Header=BB8_130 Depth=4
	s_wait_xcnt 0x1
	s_add_nc_u64 s[26:27], s[60:61], s[92:93]
	s_clause 0x1
	global_load_b32 v2, v3, s[26:27]
	global_load_b32 v15, v3, s[90:91] offset:8
	s_wait_loadcnt 0x1
	v_xor_b32_e32 v2, 0x80000000, v2
	s_wait_loadcnt 0x0
	s_delay_alu instid0(VALU_DEP_1)
	v_fmac_f32_e32 v20, v2, v15
.LBB8_134:                              ;   in Loop: Header=BB8_130 Depth=4
	s_wait_xcnt 0x1
	s_add_nc_u64 s[26:27], s[52:53], s[92:93]
	global_load_b32 v23, v3, s[26:27]
	s_wait_loadcnt 0x0
	v_and_b32_e32 v24, 0x7fffffff, v23
	s_delay_alu instid0(VALU_DEP_1)
	v_cmp_ngt_f32_e32 vcc_lo, 1.0, v24
	s_cbranch_vccnz .LBB8_129
; %bb.135:                              ;   in Loop: Header=BB8_130 Depth=4
	v_mov_b32_e32 v15, s95
	s_wait_xcnt 0x1
	v_and_b32_e32 v2, 0x7fffffff, v20
	v_cmp_nle_f32_e32 vcc_lo, 0, v23
	s_delay_alu instid0(VALU_DEP_3) | instskip(NEXT) | instid1(VALU_DEP_3)
	v_cndmask_b32_e32 v22, s94, v15, vcc_lo
	v_mul_f32_e32 v15, s23, v2
	s_branch .LBB8_137
.LBB8_136:                              ;   in Loop: Header=BB8_137 Depth=5
	v_dual_add_f32 v23, v21, v22 :: v_dual_add_f32 v22, v22, v22
	s_mov_b32 s11, 0
	s_mov_b32 s92, 0
	s_delay_alu instid0(VALU_DEP_1) | instskip(NEXT) | instid1(VALU_DEP_1)
	v_and_b32_e32 v24, 0x7fffffff, v23
	v_cmp_ngt_f32_e64 s93, 1.0, v24
	s_and_not1_b32 vcc_lo, exec_lo, s93
	s_cbranch_vccz .LBB8_143
.LBB8_137:                              ;   Parent Loop BB8_17 Depth=1
                                        ;     Parent Loop BB8_26 Depth=2
                                        ;       Parent Loop BB8_73 Depth=3
                                        ;         Parent Loop BB8_130 Depth=4
                                        ; =>        This Inner Loop Header: Depth=5
	v_cmp_ngt_f32_e32 vcc_lo, s23, v24
	v_mov_b32_e32 v21, v23
	s_mov_b32 s92, -1
	s_mov_b32 s11, 0
	s_mov_b32 s93, 0
	s_wait_xcnt 0x0
	s_mov_b32 s26, -1
	s_cbranch_vccnz .LBB8_140
; %bb.138:                              ;   in Loop: Header=BB8_137 Depth=5
	s_and_not1_b32 vcc_lo, exec_lo, s26
	s_cbranch_vccz .LBB8_141
.LBB8_139:                              ;   in Loop: Header=BB8_137 Depth=5
	s_and_not1_b32 vcc_lo, exec_lo, s93
	s_cbranch_vccz .LBB8_136
	s_branch .LBB8_142
.LBB8_140:                              ;   in Loop: Header=BB8_137 Depth=5
	v_mul_f32_e32 v23, v4, v24
	s_delay_alu instid0(VALU_DEP_1)
	v_cmp_gt_f32_e64 s93, v2, v23
	s_cbranch_execnz .LBB8_139
.LBB8_141:                              ;   in Loop: Header=BB8_137 Depth=5
	v_cmp_eq_f32_e32 vcc_lo, 0, v21
	v_cmp_gt_f32_e64 s11, v15, v24
	s_mov_b32 s92, 0
	s_or_b32 s93, vcc_lo, s11
	s_mov_b32 s11, -1
	s_and_not1_b32 vcc_lo, exec_lo, s93
	s_cbranch_vccz .LBB8_136
.LBB8_142:                              ;   in Loop: Header=BB8_130 Depth=4
                                        ; implicit-def: $vgpr22
                                        ; implicit-def: $vgpr23
                                        ; implicit-def: $vgpr24
.LBB8_143:                              ;   in Loop: Header=BB8_130 Depth=4
	s_and_b32 vcc_lo, exec_lo, s92
	s_mov_b32 s92, -1
	s_cbranch_vccnz .LBB8_149
; %bb.144:                              ;   in Loop: Header=BB8_130 Depth=4
	s_xor_b32 s11, s11, -1
	s_delay_alu instid0(SALU_CYCLE_1)
	s_and_b32 vcc_lo, exec_lo, s11
	s_mov_b32 s11, -1
	s_cbranch_vccz .LBB8_146
; %bb.145:                              ;   in Loop: Header=BB8_130 Depth=4
	s_mov_b32 s11, 0
.LBB8_146:                              ;   in Loop: Header=BB8_130 Depth=4
	v_mov_b32_e32 v22, v20
	s_and_not1_b32 vcc_lo, exec_lo, s11
	s_cbranch_vccnz .LBB8_148
; %bb.147:                              ;   in Loop: Header=BB8_130 Depth=4
	v_pk_mul_f32 v[22:23], v[4:5], v[20:21]
.LBB8_148:                              ;   in Loop: Header=BB8_130 Depth=4
	s_cbranch_execnz .LBB8_128
	s_branch .LBB8_150
.LBB8_149:                              ;   in Loop: Header=BB8_130 Depth=4
                                        ; implicit-def: $vgpr23
	s_and_not1_b32 vcc_lo, exec_lo, s92
	s_cbranch_vccnz .LBB8_128
.LBB8_150:                              ;   in Loop: Header=BB8_130 Depth=4
	v_dual_mov_b32 v23, v21 :: v_dual_mov_b32 v22, v20
	s_branch .LBB8_128
.LBB8_151:                              ;   in Loop: Header=BB8_73 Depth=3
	s_wait_xcnt 0x0
	s_or_b32 exec_lo, exec_lo, s12
	s_delay_alu instid0(SALU_CYCLE_1)
	s_and_not1_b32 vcc_lo, exec_lo, s104
	s_wait_storecnt 0x0
	s_barrier_signal -1
	s_barrier_wait -1
	s_cbranch_vccnz .LBB8_161
; %bb.152:                              ;   in Loop: Header=BB8_73 Depth=3
	s_and_b32 s11, s97, exec_lo
	s_cselect_b32 s11, s88, s100
	s_mov_b32 s100, s88
	s_cmp_eq_u32 s11, s88
	s_cbranch_scc1 .LBB8_161
; %bb.153:                              ;   in Loop: Header=BB8_73 Depth=3
	s_cmp_lt_i32 s11, s88
	s_cselect_b32 s12, -1, 0
	s_delay_alu instid0(SALU_CYCLE_1) | instskip(NEXT) | instid1(SALU_CYCLE_1)
	s_and_b32 s26, s2, s12
	s_and_saveexec_b32 s12, s26
	s_cbranch_execz .LBB8_160
; %bb.154:                              ;   in Loop: Header=BB8_73 Depth=3
	s_mul_i32 s26, s13, s11
	s_mov_b32 s92, s11
	s_add_co_i32 s36, s74, s26
.LBB8_155:                              ;   Parent Loop BB8_17 Depth=1
                                        ;     Parent Loop BB8_26 Depth=2
                                        ;       Parent Loop BB8_73 Depth=3
                                        ; =>      This Loop Header: Depth=4
                                        ;           Child Loop BB8_156 Depth 5
                                        ;           Child Loop BB8_158 Depth 5
	v_dual_mov_b32 v2, 0 :: v_dual_mov_b32 v15, v34
	s_mov_b64 s[90:91], s[48:49]
	s_mov_b32 s93, s36
.LBB8_156:                              ;   Parent Loop BB8_17 Depth=1
                                        ;     Parent Loop BB8_26 Depth=2
                                        ;       Parent Loop BB8_73 Depth=3
                                        ;         Parent Loop BB8_155 Depth=4
                                        ; =>        This Inner Loop Header: Depth=5
	s_wait_xcnt 0x0
	s_delay_alu instid0(VALU_DEP_1)
	v_dual_mov_b32 v20, s93 :: v_dual_add_nc_u32 v15, -1, v15
	s_add_co_i32 s93, s93, 1
	global_load_b32 v21, v3, s[90:91]
	global_load_b32 v20, v20, s[54:55] scale_offset
	s_wait_xcnt 0x1
	s_add_nc_u64 s[90:91], s[90:91], 4
	v_cmp_ne_u32_e32 vcc_lo, 0, v15
	s_wait_loadcnt 0x0
	v_fmac_f32_e32 v2, v21, v20
	s_cbranch_vccnz .LBB8_156
; %bb.157:                              ;   in Loop: Header=BB8_155 Depth=4
	s_mov_b32 s93, 0
	s_mov_b64 s[90:91], s[48:49]
.LBB8_158:                              ;   Parent Loop BB8_17 Depth=1
                                        ;     Parent Loop BB8_26 Depth=2
                                        ;       Parent Loop BB8_73 Depth=3
                                        ;         Parent Loop BB8_155 Depth=4
                                        ; =>        This Inner Loop Header: Depth=5
	s_add_co_i32 s26, s36, s93
	v_xor_b32_e32 v21, 0x80000000, v2
	v_mov_b32_e32 v15, s26
	s_add_co_i32 s93, s93, 1
	global_load_b32 v20, v3, s[90:91]
	global_load_b32 v15, v15, s[54:55] scale_offset
	v_cmp_ne_u32_e32 vcc_lo, s93, v34
	s_and_b32 vcc_lo, exec_lo, vcc_lo
	s_wait_loadcnt 0x0
	v_fmac_f32_e32 v20, v21, v15
	global_store_b32 v3, v20, s[90:91]
	s_wait_xcnt 0x0
	s_add_nc_u64 s[90:91], s[90:91], 4
	s_cbranch_vccnz .LBB8_158
; %bb.159:                              ;   in Loop: Header=BB8_155 Depth=4
	s_add_co_i32 s92, s92, 1
	s_add_co_i32 s36, s36, s13
	s_cmp_lt_i32 s92, s88
	s_cbranch_scc1 .LBB8_155
.LBB8_160:                              ;   in Loop: Header=BB8_73 Depth=3
	s_or_b32 exec_lo, exec_lo, s12
	s_mov_b32 s100, s11
	s_wait_storecnt 0x0
	s_barrier_signal -1
	s_barrier_wait -1
.LBB8_161:                              ;   in Loop: Header=BB8_73 Depth=3
	v_mov_b32_e32 v2, 0
	v_bfrev_b32_e32 v15, -2
	s_and_saveexec_b32 s12, s5
	s_cbranch_execz .LBB8_165
; %bb.162:                              ;   in Loop: Header=BB8_73 Depth=3
	v_mov_b64_e32 v[20:21], v[8:9]
	v_dual_mov_b32 v2, 0 :: v_dual_mov_b32 v22, v0
	v_bfrev_b32_e32 v15, -2
	s_mov_b32 s36, 0
.LBB8_163:                              ;   Parent Loop BB8_17 Depth=1
                                        ;     Parent Loop BB8_26 Depth=2
                                        ;       Parent Loop BB8_73 Depth=3
                                        ; =>      This Inner Loop Header: Depth=4
	global_load_b32 v23, v[20:21], off
	v_cmp_eq_u32_e32 vcc_lo, 0x7fffffff, v15
	v_add_nc_u32_e32 v24, 1, v22
	s_wait_xcnt 0x0
	v_add_nc_u64_e32 v[20:21], 0x400, v[20:21]
	s_wait_loadcnt 0x0
	v_cmp_lt_f32_e64 s26, v2, |v23|
	s_or_b32 vcc_lo, s26, vcc_lo
	v_dual_cndmask_b32 v15, v15, v24 :: v_dual_add_nc_u32 v22, 0x100, v22
	v_cndmask_b32_e64 v2, v2, |v23|, vcc_lo
	s_delay_alu instid0(VALU_DEP_2) | instskip(SKIP_1) | instid1(SALU_CYCLE_1)
	v_cmp_lt_i32_e64 s11, s78, v22
	s_or_b32 s36, s11, s36
	s_and_not1_b32 exec_lo, exec_lo, s36
	s_cbranch_execnz .LBB8_163
; %bb.164:                              ;   in Loop: Header=BB8_73 Depth=3
	s_or_b32 exec_lo, exec_lo, s36
.LBB8_165:                              ;   in Loop: Header=BB8_73 Depth=3
	s_delay_alu instid0(SALU_CYCLE_1)
	s_or_b32 exec_lo, exec_lo, s12
	ds_store_2addr_stride64_b32 v28, v2, v15 offset1:8
	s_wait_dscnt 0x0
	s_barrier_signal -1
	s_barrier_wait -1
	s_and_saveexec_b32 s12, s0
	s_cbranch_execz .LBB8_171
; %bb.166:                              ;   in Loop: Header=BB8_73 Depth=3
	ds_load_2addr_stride64_b32 v[20:21], v28 offset0:2 offset1:10
	s_mov_b32 s90, exec_lo
	s_wait_dscnt 0x0
	v_cmp_lt_f32_e64 s36, v2, v20
	v_cmpx_nlt_f32_e32 v2, v20
; %bb.167:                              ;   in Loop: Header=BB8_73 Depth=3
	v_cmp_eq_f32_e32 vcc_lo, v2, v20
	v_cmp_gt_i32_e64 s11, v15, v21
	s_and_not1_b32 s26, s36, exec_lo
	s_and_b32 s11, vcc_lo, s11
	s_delay_alu instid0(SALU_CYCLE_1) | instskip(NEXT) | instid1(SALU_CYCLE_1)
	s_and_b32 s11, s11, exec_lo
	s_or_b32 s36, s26, s11
; %bb.168:                              ;   in Loop: Header=BB8_73 Depth=3
	s_or_b32 exec_lo, exec_lo, s90
	s_and_saveexec_b32 s11, s36
; %bb.169:                              ;   in Loop: Header=BB8_73 Depth=3
	v_dual_mov_b32 v15, v21 :: v_dual_mov_b32 v2, v20
	ds_store_2addr_stride64_b32 v28, v20, v21 offset1:8
; %bb.170:                              ;   in Loop: Header=BB8_73 Depth=3
	s_or_b32 exec_lo, exec_lo, s11
.LBB8_171:                              ;   in Loop: Header=BB8_73 Depth=3
	s_delay_alu instid0(SALU_CYCLE_1)
	s_or_b32 exec_lo, exec_lo, s12
	s_wait_dscnt 0x0
	s_barrier_signal -1
	s_barrier_wait -1
	s_and_saveexec_b32 s12, s1
	s_cbranch_execz .LBB8_177
; %bb.172:                              ;   in Loop: Header=BB8_73 Depth=3
	ds_load_2addr_stride64_b32 v[20:21], v28 offset0:1 offset1:9
	s_mov_b32 s90, exec_lo
	s_wait_dscnt 0x0
	v_cmp_lt_f32_e64 s36, v2, v20
	v_cmpx_nlt_f32_e32 v2, v20
; %bb.173:                              ;   in Loop: Header=BB8_73 Depth=3
	v_cmp_eq_f32_e32 vcc_lo, v2, v20
	v_cmp_gt_i32_e64 s11, v15, v21
	s_and_not1_b32 s26, s36, exec_lo
	s_and_b32 s11, vcc_lo, s11
	s_delay_alu instid0(SALU_CYCLE_1) | instskip(NEXT) | instid1(SALU_CYCLE_1)
	s_and_b32 s11, s11, exec_lo
	s_or_b32 s36, s26, s11
; %bb.174:                              ;   in Loop: Header=BB8_73 Depth=3
	s_or_b32 exec_lo, exec_lo, s90
	s_and_saveexec_b32 s11, s36
; %bb.175:                              ;   in Loop: Header=BB8_73 Depth=3
	v_dual_mov_b32 v15, v21 :: v_dual_mov_b32 v2, v20
	ds_store_2addr_stride64_b32 v28, v20, v21 offset1:8
; %bb.176:                              ;   in Loop: Header=BB8_73 Depth=3
	s_or_b32 exec_lo, exec_lo, s11
.LBB8_177:                              ;   in Loop: Header=BB8_73 Depth=3
	s_delay_alu instid0(SALU_CYCLE_1)
	s_or_b32 exec_lo, exec_lo, s12
	s_wait_dscnt 0x0
	s_barrier_signal -1
	s_barrier_wait -1
	s_and_saveexec_b32 s36, s3
	s_cbranch_execz .LBB8_200
; %bb.178:                              ;   in Loop: Header=BB8_73 Depth=3
	v_add_nc_u32_e32 v20, 0x80, v28
	s_mov_b32 s90, exec_lo
	ds_load_2addr_stride64_b32 v[20:21], v20 offset1:8
	s_wait_dscnt 0x0
	v_cmp_lt_f32_e64 s12, v2, v20
	v_cmpx_nlt_f32_e32 v2, v20
; %bb.179:                              ;   in Loop: Header=BB8_73 Depth=3
	v_cmp_eq_f32_e32 vcc_lo, v2, v20
	v_cmp_gt_i32_e64 s11, v15, v21
	s_and_not1_b32 s12, s12, exec_lo
	s_and_b32 s11, vcc_lo, s11
	s_delay_alu instid0(SALU_CYCLE_1) | instskip(NEXT) | instid1(SALU_CYCLE_1)
	s_and_b32 s11, s11, exec_lo
	s_or_b32 s12, s12, s11
; %bb.180:                              ;   in Loop: Header=BB8_73 Depth=3
	s_or_b32 exec_lo, exec_lo, s90
	s_and_saveexec_b32 s11, s12
; %bb.181:                              ;   in Loop: Header=BB8_73 Depth=3
	v_dual_mov_b32 v2, v20 :: v_dual_mov_b32 v15, v21
	ds_store_2addr_stride64_b32 v28, v20, v21 offset1:8
; %bb.182:                              ;   in Loop: Header=BB8_73 Depth=3
	s_or_b32 exec_lo, exec_lo, s11
	v_add_nc_u32_e32 v20, 64, v28
	s_mov_b32 s90, exec_lo
	ds_load_2addr_stride64_b32 v[20:21], v20 offset1:8
	s_wait_dscnt 0x0
	v_cmp_lt_f32_e64 s12, v2, v20
	v_cmpx_nlt_f32_e32 v2, v20
; %bb.183:                              ;   in Loop: Header=BB8_73 Depth=3
	v_cmp_eq_f32_e32 vcc_lo, v2, v20
	v_cmp_gt_i32_e64 s11, v15, v21
	s_and_not1_b32 s12, s12, exec_lo
	s_and_b32 s11, vcc_lo, s11
	s_delay_alu instid0(SALU_CYCLE_1) | instskip(NEXT) | instid1(SALU_CYCLE_1)
	s_and_b32 s11, s11, exec_lo
	s_or_b32 s12, s12, s11
; %bb.184:                              ;   in Loop: Header=BB8_73 Depth=3
	s_or_b32 exec_lo, exec_lo, s90
	s_and_saveexec_b32 s11, s12
; %bb.185:                              ;   in Loop: Header=BB8_73 Depth=3
	v_dual_mov_b32 v2, v20 :: v_dual_mov_b32 v15, v21
	ds_store_2addr_stride64_b32 v28, v20, v21 offset1:8
; %bb.186:                              ;   in Loop: Header=BB8_73 Depth=3
	s_or_b32 exec_lo, exec_lo, s11
	;; [unrolled: 22-line block ×5, first 2 shown]
	v_add_nc_u32_e32 v20, 4, v28
	ds_load_2addr_stride64_b32 v[20:21], v20 offset1:8
	s_wait_dscnt 0x0
	v_cmp_eq_f32_e32 vcc_lo, v2, v20
	v_cmp_gt_i32_e64 s11, v15, v21
	v_cmp_lt_f32_e64 s12, v2, v20
	s_and_b32 s11, vcc_lo, s11
	s_delay_alu instid0(SALU_CYCLE_1) | instskip(NEXT) | instid1(SALU_CYCLE_1)
	s_or_b32 s11, s12, s11
	s_and_b32 exec_lo, exec_lo, s11
; %bb.199:                              ;   in Loop: Header=BB8_73 Depth=3
	ds_store_2addr_stride64_b32 v28, v20, v21 offset1:8
.LBB8_200:                              ;   in Loop: Header=BB8_73 Depth=3
	s_or_b32 exec_lo, exec_lo, s36
	s_wait_dscnt 0x0
	s_barrier_signal -1
	s_barrier_wait -1
	ds_load_b32 v2, v33
	s_add_co_i32 s11, s98, 1
	s_wait_dscnt 0x0
	v_cmp_ge_f32_e32 vcc_lo, v2, v35
	v_cndmask_b32_e64 v2, 0, 1, vcc_lo
	s_delay_alu instid0(VALU_DEP_1)
	v_readfirstlane_b32 s12, v2
	s_add_co_i32 s96, s96, s12
	s_cmp_lt_u32 s98, 4
	s_cselect_b32 s26, -1, 0
	s_cmp_lt_u32 s96, 2
	s_cselect_b32 s12, -1, 0
	s_delay_alu instid0(SALU_CYCLE_1) | instskip(NEXT) | instid1(SALU_CYCLE_1)
	s_and_b32 s26, s26, s12
	s_and_b32 vcc_lo, exec_lo, s26
	s_cbranch_vccz .LBB8_202
; %bb.201:                              ;   in Loop: Header=BB8_73 Depth=3
	s_mov_b32 s98, s11
	v_mov_b32_e32 v2, 0
	v_bfrev_b32_e32 v15, -2
	s_and_saveexec_b32 s12, s5
	s_cbranch_execnz .LBB8_70
	s_branch .LBB8_73
.LBB8_202:                              ;   in Loop: Header=BB8_26 Depth=2
	s_and_b32 s12, s33, s12
	s_delay_alu instid0(SALU_CYCLE_1)
	s_and_saveexec_b32 s11, s12
	s_cbranch_execz .LBB8_204
; %bb.203:                              ;   in Loop: Header=BB8_26 Depth=2
	ds_load_b32 v2, v3
	s_add_co_i32 s12, s88, 1
	s_wait_dscnt 0x0
	v_dual_mov_b32 v15, s12 :: v_dual_add_nc_u32 v20, 1, v2
	global_store_b32 v2, v15, s[46:47] scale_offset
	ds_store_b32 v3, v20
.LBB8_204:                              ;   in Loop: Header=BB8_26 Depth=2
	s_wait_xcnt 0x0
	s_or_b32 exec_lo, exec_lo, s11
	v_mov_b32_e32 v2, 0
	v_bfrev_b32_e32 v15, -2
	s_and_saveexec_b32 s12, s5
	s_cbranch_execz .LBB8_208
; %bb.205:                              ;   in Loop: Header=BB8_26 Depth=2
	v_mov_b64_e32 v[20:21], v[8:9]
	v_dual_mov_b32 v2, 0 :: v_dual_mov_b32 v22, v0
	v_bfrev_b32_e32 v15, -2
	s_mov_b32 s36, 0
.LBB8_206:                              ;   Parent Loop BB8_17 Depth=1
                                        ;     Parent Loop BB8_26 Depth=2
                                        ; =>    This Inner Loop Header: Depth=3
	global_load_b32 v23, v[20:21], off
	v_cmp_eq_u32_e32 vcc_lo, 0x7fffffff, v15
	v_add_nc_u32_e32 v24, 1, v22
	s_wait_xcnt 0x0
	v_add_nc_u64_e32 v[20:21], 0x400, v[20:21]
	s_wait_loadcnt 0x0
	v_cmp_lt_f32_e64 s26, v2, |v23|
	s_or_b32 vcc_lo, s26, vcc_lo
	v_dual_cndmask_b32 v15, v15, v24 :: v_dual_add_nc_u32 v22, 0x100, v22
	v_cndmask_b32_e64 v2, v2, |v23|, vcc_lo
	s_delay_alu instid0(VALU_DEP_2) | instskip(SKIP_1) | instid1(SALU_CYCLE_1)
	v_cmp_lt_i32_e64 s11, s78, v22
	s_or_b32 s36, s11, s36
	s_and_not1_b32 exec_lo, exec_lo, s36
	s_cbranch_execnz .LBB8_206
; %bb.207:                              ;   in Loop: Header=BB8_26 Depth=2
	s_or_b32 exec_lo, exec_lo, s36
.LBB8_208:                              ;   in Loop: Header=BB8_26 Depth=2
	s_delay_alu instid0(SALU_CYCLE_1)
	s_or_b32 exec_lo, exec_lo, s12
	ds_store_2addr_stride64_b32 v28, v2, v15 offset1:8
	s_wait_storecnt_dscnt 0x0
	s_barrier_signal -1
	s_barrier_wait -1
	s_and_saveexec_b32 s12, s0
	s_cbranch_execz .LBB8_214
; %bb.209:                              ;   in Loop: Header=BB8_26 Depth=2
	ds_load_2addr_stride64_b32 v[20:21], v28 offset0:2 offset1:10
	s_mov_b32 s90, exec_lo
	s_wait_dscnt 0x0
	v_cmp_lt_f32_e64 s36, v2, v20
	v_cmpx_nlt_f32_e32 v2, v20
; %bb.210:                              ;   in Loop: Header=BB8_26 Depth=2
	v_cmp_eq_f32_e32 vcc_lo, v2, v20
	v_cmp_gt_i32_e64 s11, v15, v21
	s_and_not1_b32 s26, s36, exec_lo
	s_and_b32 s11, vcc_lo, s11
	s_delay_alu instid0(SALU_CYCLE_1) | instskip(NEXT) | instid1(SALU_CYCLE_1)
	s_and_b32 s11, s11, exec_lo
	s_or_b32 s36, s26, s11
; %bb.211:                              ;   in Loop: Header=BB8_26 Depth=2
	s_or_b32 exec_lo, exec_lo, s90
	s_and_saveexec_b32 s11, s36
; %bb.212:                              ;   in Loop: Header=BB8_26 Depth=2
	v_dual_mov_b32 v15, v21 :: v_dual_mov_b32 v2, v20
	ds_store_2addr_stride64_b32 v28, v20, v21 offset1:8
; %bb.213:                              ;   in Loop: Header=BB8_26 Depth=2
	s_or_b32 exec_lo, exec_lo, s11
.LBB8_214:                              ;   in Loop: Header=BB8_26 Depth=2
	s_delay_alu instid0(SALU_CYCLE_1)
	s_or_b32 exec_lo, exec_lo, s12
	s_wait_dscnt 0x0
	s_barrier_signal -1
	s_barrier_wait -1
	s_and_saveexec_b32 s12, s1
	s_cbranch_execz .LBB8_220
; %bb.215:                              ;   in Loop: Header=BB8_26 Depth=2
	ds_load_2addr_stride64_b32 v[20:21], v28 offset0:1 offset1:9
	s_mov_b32 s90, exec_lo
	s_wait_dscnt 0x0
	v_cmp_lt_f32_e64 s36, v2, v20
	v_cmpx_nlt_f32_e32 v2, v20
; %bb.216:                              ;   in Loop: Header=BB8_26 Depth=2
	v_cmp_eq_f32_e32 vcc_lo, v2, v20
	v_cmp_gt_i32_e64 s11, v15, v21
	s_and_not1_b32 s26, s36, exec_lo
	s_and_b32 s11, vcc_lo, s11
	s_delay_alu instid0(SALU_CYCLE_1) | instskip(NEXT) | instid1(SALU_CYCLE_1)
	s_and_b32 s11, s11, exec_lo
	s_or_b32 s36, s26, s11
; %bb.217:                              ;   in Loop: Header=BB8_26 Depth=2
	s_or_b32 exec_lo, exec_lo, s90
	s_and_saveexec_b32 s11, s36
; %bb.218:                              ;   in Loop: Header=BB8_26 Depth=2
	v_dual_mov_b32 v15, v21 :: v_dual_mov_b32 v2, v20
	ds_store_2addr_stride64_b32 v28, v20, v21 offset1:8
; %bb.219:                              ;   in Loop: Header=BB8_26 Depth=2
	s_or_b32 exec_lo, exec_lo, s11
.LBB8_220:                              ;   in Loop: Header=BB8_26 Depth=2
	s_delay_alu instid0(SALU_CYCLE_1)
	s_or_b32 exec_lo, exec_lo, s12
	s_wait_dscnt 0x0
	s_barrier_signal -1
	s_barrier_wait -1
	s_and_saveexec_b32 s36, s3
	s_cbranch_execz .LBB8_243
; %bb.221:                              ;   in Loop: Header=BB8_26 Depth=2
	v_add_nc_u32_e32 v20, 0x80, v28
	s_mov_b32 s90, exec_lo
	ds_load_2addr_stride64_b32 v[20:21], v20 offset1:8
	s_wait_dscnt 0x0
	v_cmp_lt_f32_e64 s12, v2, v20
	v_cmpx_nlt_f32_e32 v2, v20
; %bb.222:                              ;   in Loop: Header=BB8_26 Depth=2
	v_cmp_eq_f32_e32 vcc_lo, v2, v20
	v_cmp_gt_i32_e64 s11, v15, v21
	s_and_not1_b32 s12, s12, exec_lo
	s_and_b32 s11, vcc_lo, s11
	s_delay_alu instid0(SALU_CYCLE_1) | instskip(NEXT) | instid1(SALU_CYCLE_1)
	s_and_b32 s11, s11, exec_lo
	s_or_b32 s12, s12, s11
; %bb.223:                              ;   in Loop: Header=BB8_26 Depth=2
	s_or_b32 exec_lo, exec_lo, s90
	s_and_saveexec_b32 s11, s12
; %bb.224:                              ;   in Loop: Header=BB8_26 Depth=2
	v_dual_mov_b32 v2, v20 :: v_dual_mov_b32 v15, v21
	ds_store_2addr_stride64_b32 v28, v20, v21 offset1:8
; %bb.225:                              ;   in Loop: Header=BB8_26 Depth=2
	s_or_b32 exec_lo, exec_lo, s11
	v_add_nc_u32_e32 v20, 64, v28
	s_mov_b32 s90, exec_lo
	ds_load_2addr_stride64_b32 v[20:21], v20 offset1:8
	s_wait_dscnt 0x0
	v_cmp_lt_f32_e64 s12, v2, v20
	v_cmpx_nlt_f32_e32 v2, v20
; %bb.226:                              ;   in Loop: Header=BB8_26 Depth=2
	v_cmp_eq_f32_e32 vcc_lo, v2, v20
	v_cmp_gt_i32_e64 s11, v15, v21
	s_and_not1_b32 s12, s12, exec_lo
	s_and_b32 s11, vcc_lo, s11
	s_delay_alu instid0(SALU_CYCLE_1) | instskip(NEXT) | instid1(SALU_CYCLE_1)
	s_and_b32 s11, s11, exec_lo
	s_or_b32 s12, s12, s11
; %bb.227:                              ;   in Loop: Header=BB8_26 Depth=2
	s_or_b32 exec_lo, exec_lo, s90
	s_and_saveexec_b32 s11, s12
; %bb.228:                              ;   in Loop: Header=BB8_26 Depth=2
	v_dual_mov_b32 v2, v20 :: v_dual_mov_b32 v15, v21
	ds_store_2addr_stride64_b32 v28, v20, v21 offset1:8
; %bb.229:                              ;   in Loop: Header=BB8_26 Depth=2
	s_or_b32 exec_lo, exec_lo, s11
	;; [unrolled: 22-line block ×5, first 2 shown]
	v_add_nc_u32_e32 v20, 4, v28
	ds_load_2addr_stride64_b32 v[20:21], v20 offset1:8
	s_wait_dscnt 0x0
	v_cmp_eq_f32_e32 vcc_lo, v2, v20
	v_cmp_gt_i32_e64 s11, v15, v21
	v_cmp_lt_f32_e64 s12, v2, v20
	s_and_b32 s11, vcc_lo, s11
	s_delay_alu instid0(SALU_CYCLE_1) | instskip(NEXT) | instid1(SALU_CYCLE_1)
	s_or_b32 s11, s12, s11
	s_and_b32 exec_lo, exec_lo, s11
; %bb.242:                              ;   in Loop: Header=BB8_26 Depth=2
	ds_store_2addr_stride64_b32 v28, v20, v21 offset1:8
.LBB8_243:                              ;   in Loop: Header=BB8_26 Depth=2
	s_or_b32 exec_lo, exec_lo, s36
	v_mov_b32_e32 v2, 0
	s_and_saveexec_b32 s11, s8
	s_cbranch_execz .LBB8_247
; %bb.244:                              ;   in Loop: Header=BB8_26 Depth=2
	v_mov_b64_e32 v[20:21], v[8:9]
	v_dual_mov_b32 v2, 0 :: v_dual_mov_b32 v15, v0
	s_mov_b32 s12, 0
.LBB8_245:                              ;   Parent Loop BB8_17 Depth=1
                                        ;     Parent Loop BB8_26 Depth=2
                                        ; =>    This Inner Loop Header: Depth=3
	global_load_b32 v22, v[20:21], off
	v_add_nc_u32_e32 v15, 0x100, v15
	s_wait_xcnt 0x0
	v_add_nc_u64_e32 v[20:21], 0x400, v[20:21]
	s_wait_loadcnt 0x0
	v_fmac_f32_e32 v2, v22, v22
	v_cmp_ge_u32_e32 vcc_lo, v15, v34
	s_or_b32 s12, vcc_lo, s12
	s_delay_alu instid0(SALU_CYCLE_1)
	s_and_not1_b32 exec_lo, exec_lo, s12
	s_cbranch_execnz .LBB8_245
; %bb.246:                              ;   in Loop: Header=BB8_26 Depth=2
	s_or_b32 exec_lo, exec_lo, s12
.LBB8_247:                              ;   in Loop: Header=BB8_26 Depth=2
	s_delay_alu instid0(SALU_CYCLE_1)
	s_or_b32 exec_lo, exec_lo, s11
	ds_store_b32 v28, v2 offset:1024
	s_wait_dscnt 0x0
	s_barrier_signal -1
	s_barrier_wait -1
	s_and_saveexec_b32 s11, s0
	s_cbranch_execz .LBB8_249
; %bb.248:                              ;   in Loop: Header=BB8_26 Depth=2
	ds_load_b32 v15, v28 offset:1536
	s_wait_dscnt 0x0
	v_add_f32_e32 v2, v2, v15
.LBB8_249:                              ;   in Loop: Header=BB8_26 Depth=2
	s_or_b32 exec_lo, exec_lo, s11
	s_barrier_signal -1
	s_barrier_wait -1
	s_and_saveexec_b32 s11, s0
; %bb.250:                              ;   in Loop: Header=BB8_26 Depth=2
	ds_store_b32 v28, v2 offset:1024
; %bb.251:                              ;   in Loop: Header=BB8_26 Depth=2
	s_or_b32 exec_lo, exec_lo, s11
	s_wait_dscnt 0x0
	s_barrier_signal -1
	s_barrier_wait -1
	s_and_saveexec_b32 s11, s1
	s_cbranch_execz .LBB8_253
; %bb.252:                              ;   in Loop: Header=BB8_26 Depth=2
	ds_load_b32 v15, v28 offset:1280
	s_wait_dscnt 0x0
	v_add_f32_e32 v2, v2, v15
.LBB8_253:                              ;   in Loop: Header=BB8_26 Depth=2
	s_or_b32 exec_lo, exec_lo, s11
	s_barrier_signal -1
	s_barrier_wait -1
	s_and_saveexec_b32 s11, s1
; %bb.254:                              ;   in Loop: Header=BB8_26 Depth=2
	ds_store_b32 v28, v2 offset:1024
; %bb.255:                              ;   in Loop: Header=BB8_26 Depth=2
	s_or_b32 exec_lo, exec_lo, s11
	s_wait_dscnt 0x0
	s_barrier_signal -1
	s_barrier_wait -1
	s_and_saveexec_b32 s11, s3
	s_cbranch_execz .LBB8_257
; %bb.256:                              ;   in Loop: Header=BB8_26 Depth=2
	v_add_nc_u32_e32 v2, 0x400, v28
	ds_load_2addr_b32 v[20:21], v2 offset1:32
	s_wait_dscnt 0x0
	v_add_f32_e32 v15, v20, v21
	ds_store_b32 v28, v15 offset:1024
	global_wb scope:SCOPE_DEV
	s_wait_storecnt_dscnt 0x0
	global_inv scope:SCOPE_DEV
	ds_load_2addr_b32 v[20:21], v2 offset1:16
	s_wait_dscnt 0x0
	v_add_f32_e32 v15, v20, v21
	ds_store_b32 v28, v15 offset:1024
	global_wb scope:SCOPE_DEV
	s_wait_storecnt 0x0
	s_wait_loadcnt_dscnt 0x0
	global_inv scope:SCOPE_DEV
	ds_load_2addr_b32 v[20:21], v2 offset1:8
	s_wait_dscnt 0x0
	v_add_f32_e32 v15, v20, v21
	ds_store_b32 v28, v15 offset:1024
	global_wb scope:SCOPE_DEV
	s_wait_storecnt 0x0
	s_wait_loadcnt_dscnt 0x0
	;; [unrolled: 8-line block ×3, first 2 shown]
	global_inv scope:SCOPE_DEV
	ds_load_2addr_b32 v[20:21], v2 offset1:2
	s_wait_dscnt 0x0
	v_dual_add_f32 v2, v20, v21 :: v_dual_add_nc_u32 v15, 0x400, v28
	ds_store_b32 v28, v2 offset:1024
	global_wb scope:SCOPE_DEV
	s_wait_storecnt 0x0
	s_wait_loadcnt_dscnt 0x0
	global_inv scope:SCOPE_DEV
	ds_load_2addr_b32 v[20:21], v15 offset1:1
	s_wait_dscnt 0x0
	v_add_f32_e32 v2, v20, v21
	ds_store_b32 v28, v2 offset:1024
	global_wb scope:SCOPE_DEV
	s_wait_storecnt 0x0
	s_wait_loadcnt_dscnt 0x0
	global_inv scope:SCOPE_DEV
.LBB8_257:                              ;   in Loop: Header=BB8_26 Depth=2
	s_or_b32 exec_lo, exec_lo, s11
	s_and_saveexec_b32 s11, s2
	s_cbranch_execz .LBB8_259
; %bb.258:                              ;   in Loop: Header=BB8_26 Depth=2
	ds_load_b32 v2, v33 offset:1024
	s_wait_dscnt 0x0
	v_readfirstlane_b32 s12, v2
	v_cmp_gt_f32_e32 vcc_lo, 0xf800000, v2
	s_mul_f32 s26, s12, 0x4f800000
	s_cmp_lt_f32 s12, 0xf800000
	s_delay_alu instid0(SALU_CYCLE_2) | instskip(NEXT) | instid1(SALU_CYCLE_1)
	s_cselect_b32 s12, s26, s12
	v_s_sqrt_f32 s26, s12
	s_mov_b32 s36, s12
	s_mov_b32 s91, s12
	s_delay_alu instid0(TRANS32_DEP_1) | instskip(NEXT) | instid1(SALU_CYCLE_1)
	s_add_co_i32 s27, s26, -1
	s_xor_b32 s90, s27, 0x80000000
	s_delay_alu instid0(SALU_CYCLE_1) | instskip(NEXT) | instid1(SALU_CYCLE_3)
	s_fmac_f32 s36, s90, s26
	s_cmp_le_f32 s36, 0
	s_cselect_b32 s27, s27, s26
	s_add_co_i32 s36, s26, 1
	s_delay_alu instid0(SALU_CYCLE_1) | instskip(NEXT) | instid1(SALU_CYCLE_1)
	s_xor_b32 s90, s36, 0x80000000
	s_fmac_f32 s91, s90, s26
	s_delay_alu instid0(SALU_CYCLE_3) | instskip(SKIP_1) | instid1(SALU_CYCLE_1)
	s_cmp_gt_f32 s91, 0
	s_cselect_b32 s26, s36, s27
	s_mul_f32 s27, s26, 0x37800000
	s_delay_alu instid0(SALU_CYCLE_3) | instskip(NEXT) | instid1(VALU_DEP_1)
	v_mov_b32_e32 v15, s27
	v_cndmask_b32_e32 v2, s26, v15, vcc_lo
	v_cmp_class_f32_e64 s26, s12, 0x260
	s_delay_alu instid0(VALU_DEP_1)
	v_cndmask_b32_e64 v2, v2, s12, s26
	ds_store_b32 v33, v2 offset:1024
.LBB8_259:                              ;   in Loop: Header=BB8_26 Depth=2
	s_or_b32 exec_lo, exec_lo, s11
	s_wait_loadcnt_dscnt 0x0
	s_barrier_signal -1
	s_barrier_wait -1
	ds_load_2addr_stride64_b32 v[20:21], v33 offset0:4 offset1:8
	s_wait_dscnt 0x0
	global_load_b32 v2, v21, s[48:49] offset:-4 scale_offset
	s_wait_loadcnt 0x0
	s_barrier_signal -1
	s_barrier_wait -1
	s_wait_xcnt 0x0
	s_and_saveexec_b32 s11, s5
	s_cbranch_execz .LBB8_269
; %bb.260:                              ;   in Loop: Header=BB8_26 Depth=2
	v_cmp_nle_f32_e32 vcc_lo, 0, v2
	s_mov_b32 s36, -1
	v_cndmask_b32_e64 v15, 1.0, -1.0, vcc_lo
	s_delay_alu instid0(VALU_DEP_1) | instskip(SKIP_1) | instid1(VALU_DEP_2)
	v_div_scale_f32 v2, null, v20, v20, v15
	v_div_scale_f32 v23, vcc_lo, v15, v20, v15
	v_rcp_f32_e32 v21, v2
	v_nop
	v_xor_b32_e32 v2, 0x80000000, v2
	s_delay_alu instid0(TRANS32_DEP_1) | instid1(VALU_DEP_1)
	v_fma_f32 v22, v2, v21, 1.0
	s_delay_alu instid0(VALU_DEP_1) | instskip(NEXT) | instid1(VALU_DEP_1)
	v_fmac_f32_e32 v21, v22, v21
	v_mul_f32_e32 v22, v23, v21
	s_delay_alu instid0(VALU_DEP_1) | instskip(NEXT) | instid1(VALU_DEP_1)
	v_fma_f32 v24, v2, v22, v23
	v_fmac_f32_e32 v22, v24, v21
	s_delay_alu instid0(VALU_DEP_1) | instskip(NEXT) | instid1(VALU_DEP_1)
	v_dual_fmac_f32 v23, v2, v22 :: v_dual_mov_b32 v2, v0
	v_div_fmas_f32 v21, v23, v21, v22
	v_mov_b64_e32 v[22:23], v[6:7]
	s_delay_alu instid0(VALU_DEP_2)
	v_div_fixup_f32 v20, v21, v20, v15
	s_and_saveexec_b32 s12, s9
	s_cbranch_execz .LBB8_266
; %bb.261:                              ;   in Loop: Header=BB8_26 Depth=2
	v_mov_b64_e32 v[22:23], v[0:1]
	s_delay_alu instid0(VALU_DEP_2)
	v_dual_mov_b32 v21, v20 :: v_dual_mov_b32 v15, v36
	s_mov_b32 s36, 0
.LBB8_262:                              ;   Parent Loop BB8_17 Depth=1
                                        ;     Parent Loop BB8_26 Depth=2
                                        ; =>    This Inner Loop Header: Depth=3
	s_delay_alu instid0(VALU_DEP_1) | instskip(SKIP_1) | instid1(VALU_DEP_2)
	v_dual_mov_b32 v2, v22 :: v_dual_add_nc_u32 v15, -2, v15
	v_add_nc_u32_e32 v22, 0x200, v22
	v_lshl_add_u64 v[24:25], v[2:3], 2, s[48:49]
	v_dual_mov_b32 v2, v23 :: v_dual_add_nc_u32 v23, 0x200, v23
	s_delay_alu instid0(VALU_DEP_4) | instskip(NEXT) | instid1(VALU_DEP_2)
	v_cmp_eq_u32_e32 vcc_lo, 0, v15
	v_lshl_add_u64 v[26:27], v[2:3], 2, s[48:49]
	s_clause 0x1
	global_load_b32 v38, v[24:25], off
	global_load_b32 v39, v[26:27], off
	s_or_b32 s36, vcc_lo, s36
	s_wait_loadcnt 0x0
	v_pk_mul_f32 v[38:39], v[20:21], v[38:39]
	s_clause 0x1
	global_store_b32 v[24:25], v38, off
	global_store_b32 v[26:27], v39, off
	s_wait_xcnt 0x0
	s_and_not1_b32 exec_lo, exec_lo, s36
	s_cbranch_execnz .LBB8_262
; %bb.263:                              ;   in Loop: Header=BB8_26 Depth=2
	s_or_b32 exec_lo, exec_lo, s36
	s_mov_b32 s36, 0
                                        ; implicit-def: $vgpr22_vgpr23
	s_and_saveexec_b32 s90, s10
; %bb.264:                              ;   in Loop: Header=BB8_26 Depth=2
	v_mov_b32_e32 v15, v3
	s_mov_b32 s36, exec_lo
	s_delay_alu instid0(VALU_DEP_1)
	v_lshlrev_b64_e32 v[22:23], 2, v[14:15]
; %bb.265:                              ;   in Loop: Header=BB8_26 Depth=2
	s_or_b32 exec_lo, exec_lo, s90
	v_mov_b32_e32 v2, v14
	s_or_not1_b32 s36, s36, exec_lo
.LBB8_266:                              ;   in Loop: Header=BB8_26 Depth=2
	s_or_b32 exec_lo, exec_lo, s12
	s_delay_alu instid0(SALU_CYCLE_1)
	s_and_b32 exec_lo, exec_lo, s36
	s_cbranch_execz .LBB8_269
; %bb.267:                              ;   in Loop: Header=BB8_26 Depth=2
	v_add_nc_u64_e32 v[22:23], s[48:49], v[22:23]
	s_mov_b32 s12, 0
.LBB8_268:                              ;   Parent Loop BB8_17 Depth=1
                                        ;     Parent Loop BB8_26 Depth=2
                                        ; =>    This Inner Loop Header: Depth=3
	global_load_b32 v15, v[22:23], off
	s_wait_loadcnt 0x0
	v_dual_mul_f32 v15, v20, v15 :: v_dual_add_nc_u32 v2, 0x100, v2
	s_delay_alu instid0(VALU_DEP_1) | instskip(SKIP_4) | instid1(SALU_CYCLE_1)
	v_cmp_lt_i32_e32 vcc_lo, s78, v2
	global_store_b32 v[22:23], v15, off
	s_wait_xcnt 0x0
	v_add_nc_u64_e32 v[22:23], 0x400, v[22:23]
	s_or_b32 s12, vcc_lo, s12
	s_and_not1_b32 exec_lo, exec_lo, s12
	s_cbranch_execnz .LBB8_268
.LBB8_269:                              ;   in Loop: Header=BB8_26 Depth=2
	s_or_b32 exec_lo, exec_lo, s11
	s_wait_storecnt 0x0
	s_barrier_signal -1
	s_barrier_wait -1
	s_and_saveexec_b32 s12, s4
	s_cbranch_execz .LBB8_274
.LBB8_270:                              ;   in Loop: Header=BB8_26 Depth=2
	v_mov_b32_e32 v2, v0
	s_mov_b32 s36, 0
	s_branch .LBB8_272
.LBB8_271:                              ;   in Loop: Header=BB8_272 Depth=3
	s_wait_xcnt 0x0
	s_or_b32 exec_lo, exec_lo, s11
	v_add_nc_u32_e32 v20, s103, v2
	v_add_nc_u32_e32 v2, 0x100, v2
	s_wait_loadcnt 0x0
	global_store_b32 v20, v15, s[54:55] scale_offset
	v_cmp_le_i32_e32 vcc_lo, s24, v2
	s_or_b32 s36, vcc_lo, s36
	s_wait_xcnt 0x0
	s_and_not1_b32 exec_lo, exec_lo, s36
	s_cbranch_execz .LBB8_274
.LBB8_272:                              ;   Parent Loop BB8_17 Depth=1
                                        ;     Parent Loop BB8_26 Depth=2
                                        ; =>    This Inner Loop Header: Depth=3
	s_delay_alu instid0(VALU_DEP_1) | instskip(SKIP_3) | instid1(SALU_CYCLE_1)
	v_cmp_le_i32_e32 vcc_lo, s74, v2
	v_cmp_gt_i32_e64 s11, s76, v2
	v_mov_b32_e32 v15, 0
	s_and_b32 s26, vcc_lo, s11
	s_and_saveexec_b32 s11, s26
	s_cbranch_execz .LBB8_271
; %bb.273:                              ;   in Loop: Header=BB8_272 Depth=3
	v_add_nc_u32_e32 v15, s101, v2
	global_load_b32 v15, v15, s[48:49] scale_offset
	s_branch .LBB8_271
.LBB8_274:                              ;   in Loop: Header=BB8_26 Depth=2
	s_or_b32 exec_lo, exec_lo, s12
	s_add_co_i32 s88, s88, 1
	s_add_co_i32 s102, s102, 1
	;; [unrolled: 1-line block ×3, first 2 shown]
	s_cmp_ge_i32 s88, s44
	s_wait_storecnt 0x0
	s_barrier_signal -1
	s_barrier_wait -1
	s_cselect_b32 s12, -1, 0
	s_mov_b32 s36, s43
	s_and_b32 vcc_lo, exec_lo, s12
	s_cbranch_vccnz .LBB8_15
.LBB8_275:                              ;   in Loop: Header=BB8_26 Depth=2
	s_mov_b32 s11, s89
	s_branch .LBB8_26
.LBB8_276:
	s_wait_xcnt 0x0
	s_and_saveexec_b32 s0, s2
	s_cbranch_execz .LBB8_278
; %bb.277:
	v_mov_b32_e32 v0, 0
	v_readlane_b32 s0, v44, 0
	v_readlane_b32 s6, v44, 6
	;; [unrolled: 1-line block ×4, first 2 shown]
	ds_load_b32 v1, v0
	v_readlane_b32 s2, v44, 2
	v_readlane_b32 s3, v44, 3
	s_add_nc_u64 s[0:1], s[6:7], s[34:35]
	v_readlane_b32 s4, v44, 4
	v_readlane_b32 s5, v44, 5
	s_wait_dscnt 0x0
	global_store_b32 v0, v1, s[0:1]
.LBB8_278:
	s_endpgm
	.section	.rodata,"a",@progbits
	.p2align	6, 0x0
	.amdhsa_kernel _ZN9rocsolver6v33100L12stein_kernelIffPfEEviPT0_lS4_lPiS4_lS5_lS5_lT1_iilS5_lS5_S4_S5_S3_S3_
		.amdhsa_group_segment_fixed_size 8
		.amdhsa_private_segment_fixed_size 0
		.amdhsa_kernarg_size 168
		.amdhsa_user_sgpr_count 2
		.amdhsa_user_sgpr_dispatch_ptr 0
		.amdhsa_user_sgpr_queue_ptr 0
		.amdhsa_user_sgpr_kernarg_segment_ptr 1
		.amdhsa_user_sgpr_dispatch_id 0
		.amdhsa_user_sgpr_kernarg_preload_length 0
		.amdhsa_user_sgpr_kernarg_preload_offset 0
		.amdhsa_user_sgpr_private_segment_size 0
		.amdhsa_wavefront_size32 1
		.amdhsa_uses_dynamic_stack 0
		.amdhsa_enable_private_segment 0
		.amdhsa_system_sgpr_workgroup_id_x 1
		.amdhsa_system_sgpr_workgroup_id_y 1
		.amdhsa_system_sgpr_workgroup_id_z 0
		.amdhsa_system_sgpr_workgroup_info 0
		.amdhsa_system_vgpr_workitem_id 0
		.amdhsa_next_free_vgpr 45
		.amdhsa_next_free_sgpr 105
		.amdhsa_named_barrier_count 0
		.amdhsa_reserve_vcc 1
		.amdhsa_float_round_mode_32 0
		.amdhsa_float_round_mode_16_64 0
		.amdhsa_float_denorm_mode_32 3
		.amdhsa_float_denorm_mode_16_64 3
		.amdhsa_fp16_overflow 0
		.amdhsa_memory_ordered 1
		.amdhsa_forward_progress 1
		.amdhsa_inst_pref_size 86
		.amdhsa_round_robin_scheduling 0
		.amdhsa_exception_fp_ieee_invalid_op 0
		.amdhsa_exception_fp_denorm_src 0
		.amdhsa_exception_fp_ieee_div_zero 0
		.amdhsa_exception_fp_ieee_overflow 0
		.amdhsa_exception_fp_ieee_underflow 0
		.amdhsa_exception_fp_ieee_inexact 0
		.amdhsa_exception_int_div_zero 0
	.end_amdhsa_kernel
	.section	.text._ZN9rocsolver6v33100L12stein_kernelIffPfEEviPT0_lS4_lPiS4_lS5_lS5_lT1_iilS5_lS5_S4_S5_S3_S3_,"axG",@progbits,_ZN9rocsolver6v33100L12stein_kernelIffPfEEviPT0_lS4_lPiS4_lS5_lS5_lT1_iilS5_lS5_S4_S5_S3_S3_,comdat
.Lfunc_end8:
	.size	_ZN9rocsolver6v33100L12stein_kernelIffPfEEviPT0_lS4_lPiS4_lS5_lS5_lT1_iilS5_lS5_S4_S5_S3_S3_, .Lfunc_end8-_ZN9rocsolver6v33100L12stein_kernelIffPfEEviPT0_lS4_lPiS4_lS5_lS5_lT1_iilS5_lS5_S4_S5_S3_S3_
                                        ; -- End function
	.set _ZN9rocsolver6v33100L12stein_kernelIffPfEEviPT0_lS4_lPiS4_lS5_lS5_lT1_iilS5_lS5_S4_S5_S3_S3_.num_vgpr, 45
	.set _ZN9rocsolver6v33100L12stein_kernelIffPfEEviPT0_lS4_lPiS4_lS5_lS5_lT1_iilS5_lS5_S4_S5_S3_S3_.num_agpr, 0
	.set _ZN9rocsolver6v33100L12stein_kernelIffPfEEviPT0_lS4_lPiS4_lS5_lS5_lT1_iilS5_lS5_S4_S5_S3_S3_.numbered_sgpr, 105
	.set _ZN9rocsolver6v33100L12stein_kernelIffPfEEviPT0_lS4_lPiS4_lS5_lS5_lT1_iilS5_lS5_S4_S5_S3_S3_.num_named_barrier, 0
	.set _ZN9rocsolver6v33100L12stein_kernelIffPfEEviPT0_lS4_lPiS4_lS5_lS5_lT1_iilS5_lS5_S4_S5_S3_S3_.private_seg_size, 0
	.set _ZN9rocsolver6v33100L12stein_kernelIffPfEEviPT0_lS4_lPiS4_lS5_lS5_lT1_iilS5_lS5_S4_S5_S3_S3_.uses_vcc, 1
	.set _ZN9rocsolver6v33100L12stein_kernelIffPfEEviPT0_lS4_lPiS4_lS5_lS5_lT1_iilS5_lS5_S4_S5_S3_S3_.uses_flat_scratch, 0
	.set _ZN9rocsolver6v33100L12stein_kernelIffPfEEviPT0_lS4_lPiS4_lS5_lS5_lT1_iilS5_lS5_S4_S5_S3_S3_.has_dyn_sized_stack, 0
	.set _ZN9rocsolver6v33100L12stein_kernelIffPfEEviPT0_lS4_lPiS4_lS5_lS5_lT1_iilS5_lS5_S4_S5_S3_S3_.has_recursion, 0
	.set _ZN9rocsolver6v33100L12stein_kernelIffPfEEviPT0_lS4_lPiS4_lS5_lS5_lT1_iilS5_lS5_S4_S5_S3_S3_.has_indirect_call, 0
	.section	.AMDGPU.csdata,"",@progbits
; Kernel info:
; codeLenInByte = 10924
; TotalNumSgprs: 107
; NumVgprs: 45
; ScratchSize: 0
; MemoryBound: 0
; FloatMode: 240
; IeeeMode: 1
; LDSByteSize: 8 bytes/workgroup (compile time only)
; SGPRBlocks: 0
; VGPRBlocks: 2
; NumSGPRsForWavesPerEU: 107
; NumVGPRsForWavesPerEU: 45
; NamedBarCnt: 0
; Occupancy: 16
; WaveLimiterHint : 1
; COMPUTE_PGM_RSRC2:SCRATCH_EN: 0
; COMPUTE_PGM_RSRC2:USER_SGPR: 2
; COMPUTE_PGM_RSRC2:TRAP_HANDLER: 0
; COMPUTE_PGM_RSRC2:TGID_X_EN: 1
; COMPUTE_PGM_RSRC2:TGID_Y_EN: 1
; COMPUTE_PGM_RSRC2:TGID_Z_EN: 0
; COMPUTE_PGM_RSRC2:TIDIG_COMP_CNT: 0
	.text
	.p2align	2                               ; -- Begin function __ockl_fprintf_append_string_n
	.type	__ockl_fprintf_append_string_n,@function
__ockl_fprintf_append_string_n:         ; @__ockl_fprintf_append_string_n
; %bb.0:
	s_wait_loadcnt_dscnt 0x0
	s_wait_kmcnt 0x0
	v_dual_mov_b32 v9, v3 :: v_dual_mov_b32 v8, v2
	v_or_b32_e32 v2, 2, v0
	v_cmp_eq_u32_e64 s0, 0, v6
	v_mbcnt_lo_u32_b32 v30, -1, 0
	s_mov_b32 s7, 0
	v_cndmask_b32_e64 v0, v2, v0, s0
	s_mov_b32 s0, exec_lo
	v_cmpx_ne_u64_e32 0, v[8:9]
	s_xor_b32 s6, exec_lo, s0
	s_cbranch_execz .LBB9_86
; %bb.1:
	s_load_b64 s[2:3], s[8:9], 0x50
	v_mov_b64_e32 v[12:13], 0x100000002
	v_dual_mov_b32 v11, 0 :: v_dual_bitop2_b32 v6, 2, v0 bitop3:0x40
	v_and_b32_e32 v0, -3, v0
	s_mov_b32 s10, 0
	s_branch .LBB9_3
.LBB9_2:                                ;   in Loop: Header=BB9_3 Depth=1
	s_or_b32 exec_lo, exec_lo, s11
	v_sub_nc_u64_e32 v[4:5], v[4:5], v[32:33]
	v_add_nc_u64_e32 v[8:9], v[8:9], v[32:33]
	s_delay_alu instid0(VALU_DEP_2) | instskip(SKIP_1) | instid1(SALU_CYCLE_1)
	v_cmp_eq_u64_e32 vcc_lo, 0, v[4:5]
	s_or_b32 s10, vcc_lo, s10
	s_and_not1_b32 exec_lo, exec_lo, s10
	s_cbranch_execz .LBB9_85
.LBB9_3:                                ; =>This Loop Header: Depth=1
                                        ;     Child Loop BB9_6 Depth 2
                                        ;     Child Loop BB9_14 Depth 2
	;; [unrolled: 1-line block ×11, first 2 shown]
	v_min_u64 v[32:33], v[4:5], 56
	s_delay_alu instid0(VALU_DEP_3)
	v_add_nc_u64_e32 v[16:17], 8, v[8:9]
	s_mov_b32 s0, exec_lo
	v_cmpx_gt_u64_e32 8, v[4:5]
	s_xor_b32 s4, exec_lo, s0
	s_cbranch_execz .LBB9_9
; %bb.4:                                ;   in Loop: Header=BB9_3 Depth=1
	s_wait_loadcnt 0x0
	v_mov_b64_e32 v[2:3], 0
	s_mov_b32 s5, exec_lo
	v_cmpx_ne_u64_e32 0, v[4:5]
	s_cbranch_execz .LBB9_8
; %bb.5:                                ;   in Loop: Header=BB9_3 Depth=1
	v_mov_b64_e32 v[2:3], 0
	v_mov_b64_e32 v[14:15], v[8:9]
	v_lshlrev_b32_e32 v10, 3, v32
	s_mov_b64 s[0:1], 0
	s_mov_b32 s11, 0
.LBB9_6:                                ;   Parent Loop BB9_3 Depth=1
                                        ; =>  This Inner Loop Header: Depth=2
	global_load_u8 v7, v[14:15], off
	v_mov_b32_e32 v17, s7
	s_wait_xcnt 0x0
	v_add_nc_u64_e32 v[14:15], 1, v[14:15]
	s_wait_loadcnt 0x0
	v_and_b32_e32 v16, 0xffff, v7
	s_delay_alu instid0(VALU_DEP_1) | instskip(SKIP_1) | instid1(SALU_CYCLE_1)
	v_lshlrev_b64_e32 v[16:17], s0, v[16:17]
	s_add_nc_u64 s[0:1], s[0:1], 8
	v_cmp_eq_u32_e32 vcc_lo, s0, v10
	s_delay_alu instid0(VALU_DEP_2) | instskip(NEXT) | instid1(VALU_DEP_3)
	v_or_b32_e32 v3, v17, v3
	v_or_b32_e32 v2, v16, v2
	s_or_b32 s11, vcc_lo, s11
	s_delay_alu instid0(SALU_CYCLE_1)
	s_and_not1_b32 exec_lo, exec_lo, s11
	s_cbranch_execnz .LBB9_6
; %bb.7:                                ;   in Loop: Header=BB9_3 Depth=1
	s_or_b32 exec_lo, exec_lo, s11
.LBB9_8:                                ;   in Loop: Header=BB9_3 Depth=1
	s_delay_alu instid0(SALU_CYCLE_1)
	s_or_b32 exec_lo, exec_lo, s5
	v_mov_b64_e32 v[16:17], v[8:9]
.LBB9_9:                                ;   in Loop: Header=BB9_3 Depth=1
	s_or_saveexec_b32 s0, s4
	v_mov_b32_e32 v7, 0
	s_xor_b32 exec_lo, exec_lo, s0
	s_cbranch_execz .LBB9_11
; %bb.10:                               ;   in Loop: Header=BB9_3 Depth=1
	s_wait_loadcnt 0x0
	global_load_b64 v[2:3], v[8:9], off
	v_add_nc_u32_e32 v7, -8, v32
.LBB9_11:                               ;   in Loop: Header=BB9_3 Depth=1
	s_wait_xcnt 0x0
	s_or_b32 exec_lo, exec_lo, s0
	v_add_nc_u64_e32 v[18:19], 8, v[16:17]
                                        ; implicit-def: $vgpr14_vgpr15
	s_mov_b32 s0, exec_lo
	v_cmpx_gt_u32_e32 8, v7
	s_xor_b32 s11, exec_lo, s0
	s_cbranch_execz .LBB9_17
; %bb.12:                               ;   in Loop: Header=BB9_3 Depth=1
	v_mov_b64_e32 v[14:15], 0
	s_mov_b32 s12, exec_lo
	v_cmpx_ne_u32_e32 0, v7
	s_cbranch_execz .LBB9_16
; %bb.13:                               ;   in Loop: Header=BB9_3 Depth=1
	v_mov_b64_e32 v[14:15], 0
	s_mov_b64 s[0:1], 0
	s_mov_b32 s13, 0
	s_mov_b64 s[4:5], 0
.LBB9_14:                               ;   Parent Loop BB9_3 Depth=1
                                        ; =>  This Inner Loop Header: Depth=2
	s_delay_alu instid0(SALU_CYCLE_1) | instskip(SKIP_1) | instid1(SALU_CYCLE_1)
	v_add_nc_u64_e32 v[18:19], s[4:5], v[16:17]
	s_add_nc_u64 s[4:5], s[4:5], 1
	v_cmp_eq_u32_e32 vcc_lo, s4, v7
	global_load_u8 v10, v[18:19], off
	s_wait_xcnt 0x0
	v_mov_b32_e32 v19, s7
	s_or_b32 s13, vcc_lo, s13
	s_wait_loadcnt 0x0
	v_and_b32_e32 v18, 0xffff, v10
	s_delay_alu instid0(VALU_DEP_1) | instskip(SKIP_1) | instid1(VALU_DEP_1)
	v_lshlrev_b64_e32 v[18:19], s0, v[18:19]
	s_add_nc_u64 s[0:1], s[0:1], 8
	v_or_b32_e32 v15, v19, v15
	s_delay_alu instid0(VALU_DEP_2)
	v_or_b32_e32 v14, v18, v14
	s_and_not1_b32 exec_lo, exec_lo, s13
	s_cbranch_execnz .LBB9_14
; %bb.15:                               ;   in Loop: Header=BB9_3 Depth=1
	s_or_b32 exec_lo, exec_lo, s13
.LBB9_16:                               ;   in Loop: Header=BB9_3 Depth=1
	s_delay_alu instid0(SALU_CYCLE_1)
	s_or_b32 exec_lo, exec_lo, s12
	v_mov_b64_e32 v[18:19], v[16:17]
                                        ; implicit-def: $vgpr7
.LBB9_17:                               ;   in Loop: Header=BB9_3 Depth=1
	s_or_saveexec_b32 s0, s11
	v_mov_b32_e32 v10, 0
	s_xor_b32 exec_lo, exec_lo, s0
	s_cbranch_execz .LBB9_19
; %bb.18:                               ;   in Loop: Header=BB9_3 Depth=1
	global_load_b64 v[14:15], v[16:17], off
	v_add_nc_u32_e32 v10, -8, v7
.LBB9_19:                               ;   in Loop: Header=BB9_3 Depth=1
	s_wait_xcnt 0x0
	s_or_b32 exec_lo, exec_lo, s0
	v_add_nc_u64_e32 v[20:21], 8, v[18:19]
	s_mov_b32 s0, exec_lo
	v_cmpx_gt_u32_e32 8, v10
	s_xor_b32 s11, exec_lo, s0
	s_cbranch_execz .LBB9_25
; %bb.20:                               ;   in Loop: Header=BB9_3 Depth=1
	v_mov_b64_e32 v[16:17], 0
	s_mov_b32 s12, exec_lo
	v_cmpx_ne_u32_e32 0, v10
	s_cbranch_execz .LBB9_24
; %bb.21:                               ;   in Loop: Header=BB9_3 Depth=1
	v_mov_b64_e32 v[16:17], 0
	s_mov_b64 s[0:1], 0
	s_mov_b32 s13, 0
	s_mov_b64 s[4:5], 0
.LBB9_22:                               ;   Parent Loop BB9_3 Depth=1
                                        ; =>  This Inner Loop Header: Depth=2
	s_delay_alu instid0(SALU_CYCLE_1) | instskip(SKIP_1) | instid1(SALU_CYCLE_1)
	v_add_nc_u64_e32 v[20:21], s[4:5], v[18:19]
	s_add_nc_u64 s[4:5], s[4:5], 1
	v_cmp_eq_u32_e32 vcc_lo, s4, v10
	global_load_u8 v7, v[20:21], off
	s_wait_xcnt 0x0
	v_mov_b32_e32 v21, s7
	s_or_b32 s13, vcc_lo, s13
	s_wait_loadcnt 0x0
	v_and_b32_e32 v20, 0xffff, v7
	s_delay_alu instid0(VALU_DEP_1) | instskip(SKIP_1) | instid1(VALU_DEP_1)
	v_lshlrev_b64_e32 v[20:21], s0, v[20:21]
	s_add_nc_u64 s[0:1], s[0:1], 8
	v_or_b32_e32 v17, v21, v17
	s_delay_alu instid0(VALU_DEP_2)
	v_or_b32_e32 v16, v20, v16
	s_and_not1_b32 exec_lo, exec_lo, s13
	s_cbranch_execnz .LBB9_22
; %bb.23:                               ;   in Loop: Header=BB9_3 Depth=1
	s_or_b32 exec_lo, exec_lo, s13
.LBB9_24:                               ;   in Loop: Header=BB9_3 Depth=1
	s_delay_alu instid0(SALU_CYCLE_1)
	s_or_b32 exec_lo, exec_lo, s12
	v_mov_b64_e32 v[20:21], v[18:19]
                                        ; implicit-def: $vgpr10
.LBB9_25:                               ;   in Loop: Header=BB9_3 Depth=1
	s_or_saveexec_b32 s0, s11
	v_mov_b32_e32 v7, 0
	s_xor_b32 exec_lo, exec_lo, s0
	s_cbranch_execz .LBB9_27
; %bb.26:                               ;   in Loop: Header=BB9_3 Depth=1
	global_load_b64 v[16:17], v[18:19], off
	v_add_nc_u32_e32 v7, -8, v10
.LBB9_27:                               ;   in Loop: Header=BB9_3 Depth=1
	s_wait_xcnt 0x0
	s_or_b32 exec_lo, exec_lo, s0
	v_add_nc_u64_e32 v[22:23], 8, v[20:21]
                                        ; implicit-def: $vgpr18_vgpr19
	s_mov_b32 s0, exec_lo
	v_cmpx_gt_u32_e32 8, v7
	s_xor_b32 s11, exec_lo, s0
	s_cbranch_execz .LBB9_33
; %bb.28:                               ;   in Loop: Header=BB9_3 Depth=1
	v_mov_b64_e32 v[18:19], 0
	s_mov_b32 s12, exec_lo
	v_cmpx_ne_u32_e32 0, v7
	s_cbranch_execz .LBB9_32
; %bb.29:                               ;   in Loop: Header=BB9_3 Depth=1
	v_mov_b64_e32 v[18:19], 0
	s_mov_b64 s[0:1], 0
	s_mov_b32 s13, 0
	s_mov_b64 s[4:5], 0
.LBB9_30:                               ;   Parent Loop BB9_3 Depth=1
                                        ; =>  This Inner Loop Header: Depth=2
	s_delay_alu instid0(SALU_CYCLE_1) | instskip(SKIP_1) | instid1(SALU_CYCLE_1)
	v_add_nc_u64_e32 v[22:23], s[4:5], v[20:21]
	s_add_nc_u64 s[4:5], s[4:5], 1
	v_cmp_eq_u32_e32 vcc_lo, s4, v7
	global_load_u8 v10, v[22:23], off
	s_wait_xcnt 0x0
	v_mov_b32_e32 v23, s7
	s_or_b32 s13, vcc_lo, s13
	s_wait_loadcnt 0x0
	v_and_b32_e32 v22, 0xffff, v10
	s_delay_alu instid0(VALU_DEP_1) | instskip(SKIP_1) | instid1(VALU_DEP_1)
	v_lshlrev_b64_e32 v[22:23], s0, v[22:23]
	s_add_nc_u64 s[0:1], s[0:1], 8
	v_or_b32_e32 v19, v23, v19
	s_delay_alu instid0(VALU_DEP_2)
	v_or_b32_e32 v18, v22, v18
	s_and_not1_b32 exec_lo, exec_lo, s13
	s_cbranch_execnz .LBB9_30
; %bb.31:                               ;   in Loop: Header=BB9_3 Depth=1
	s_or_b32 exec_lo, exec_lo, s13
.LBB9_32:                               ;   in Loop: Header=BB9_3 Depth=1
	s_delay_alu instid0(SALU_CYCLE_1)
	s_or_b32 exec_lo, exec_lo, s12
	v_mov_b64_e32 v[22:23], v[20:21]
                                        ; implicit-def: $vgpr7
.LBB9_33:                               ;   in Loop: Header=BB9_3 Depth=1
	s_or_saveexec_b32 s0, s11
	v_mov_b32_e32 v10, 0
	s_xor_b32 exec_lo, exec_lo, s0
	s_cbranch_execz .LBB9_35
; %bb.34:                               ;   in Loop: Header=BB9_3 Depth=1
	global_load_b64 v[18:19], v[20:21], off
	v_add_nc_u32_e32 v10, -8, v7
.LBB9_35:                               ;   in Loop: Header=BB9_3 Depth=1
	s_wait_xcnt 0x0
	s_or_b32 exec_lo, exec_lo, s0
	v_add_nc_u64_e32 v[24:25], 8, v[22:23]
	s_mov_b32 s0, exec_lo
	v_cmpx_gt_u32_e32 8, v10
	s_xor_b32 s11, exec_lo, s0
	s_cbranch_execz .LBB9_41
; %bb.36:                               ;   in Loop: Header=BB9_3 Depth=1
	v_mov_b64_e32 v[20:21], 0
	s_mov_b32 s12, exec_lo
	v_cmpx_ne_u32_e32 0, v10
	s_cbranch_execz .LBB9_40
; %bb.37:                               ;   in Loop: Header=BB9_3 Depth=1
	v_mov_b64_e32 v[20:21], 0
	s_mov_b64 s[0:1], 0
	s_mov_b32 s13, 0
	s_mov_b64 s[4:5], 0
.LBB9_38:                               ;   Parent Loop BB9_3 Depth=1
                                        ; =>  This Inner Loop Header: Depth=2
	s_delay_alu instid0(SALU_CYCLE_1) | instskip(SKIP_1) | instid1(SALU_CYCLE_1)
	v_add_nc_u64_e32 v[24:25], s[4:5], v[22:23]
	s_add_nc_u64 s[4:5], s[4:5], 1
	v_cmp_eq_u32_e32 vcc_lo, s4, v10
	global_load_u8 v7, v[24:25], off
	s_wait_xcnt 0x0
	v_mov_b32_e32 v25, s7
	s_or_b32 s13, vcc_lo, s13
	s_wait_loadcnt 0x0
	v_and_b32_e32 v24, 0xffff, v7
	s_delay_alu instid0(VALU_DEP_1) | instskip(SKIP_1) | instid1(VALU_DEP_1)
	v_lshlrev_b64_e32 v[24:25], s0, v[24:25]
	s_add_nc_u64 s[0:1], s[0:1], 8
	v_or_b32_e32 v21, v25, v21
	s_delay_alu instid0(VALU_DEP_2)
	v_or_b32_e32 v20, v24, v20
	s_and_not1_b32 exec_lo, exec_lo, s13
	s_cbranch_execnz .LBB9_38
; %bb.39:                               ;   in Loop: Header=BB9_3 Depth=1
	s_or_b32 exec_lo, exec_lo, s13
.LBB9_40:                               ;   in Loop: Header=BB9_3 Depth=1
	s_delay_alu instid0(SALU_CYCLE_1)
	s_or_b32 exec_lo, exec_lo, s12
	v_mov_b64_e32 v[24:25], v[22:23]
                                        ; implicit-def: $vgpr10
.LBB9_41:                               ;   in Loop: Header=BB9_3 Depth=1
	s_or_saveexec_b32 s0, s11
	v_mov_b32_e32 v7, 0
	s_xor_b32 exec_lo, exec_lo, s0
	s_cbranch_execz .LBB9_43
; %bb.42:                               ;   in Loop: Header=BB9_3 Depth=1
	global_load_b64 v[20:21], v[22:23], off
	v_add_nc_u32_e32 v7, -8, v10
.LBB9_43:                               ;   in Loop: Header=BB9_3 Depth=1
	s_wait_xcnt 0x0
	s_or_b32 exec_lo, exec_lo, s0
	v_add_nc_u64_e32 v[26:27], 8, v[24:25]
                                        ; implicit-def: $vgpr22_vgpr23
	s_mov_b32 s0, exec_lo
	v_cmpx_gt_u32_e32 8, v7
	s_xor_b32 s11, exec_lo, s0
	s_cbranch_execz .LBB9_49
; %bb.44:                               ;   in Loop: Header=BB9_3 Depth=1
	v_mov_b64_e32 v[22:23], 0
	s_mov_b32 s12, exec_lo
	v_cmpx_ne_u32_e32 0, v7
	s_cbranch_execz .LBB9_48
; %bb.45:                               ;   in Loop: Header=BB9_3 Depth=1
	v_mov_b64_e32 v[22:23], 0
	s_mov_b64 s[0:1], 0
	s_mov_b32 s13, 0
	s_mov_b64 s[4:5], 0
.LBB9_46:                               ;   Parent Loop BB9_3 Depth=1
                                        ; =>  This Inner Loop Header: Depth=2
	s_delay_alu instid0(SALU_CYCLE_1) | instskip(SKIP_1) | instid1(SALU_CYCLE_1)
	v_add_nc_u64_e32 v[26:27], s[4:5], v[24:25]
	s_add_nc_u64 s[4:5], s[4:5], 1
	v_cmp_eq_u32_e32 vcc_lo, s4, v7
	global_load_u8 v10, v[26:27], off
	s_wait_xcnt 0x0
	v_mov_b32_e32 v27, s7
	s_or_b32 s13, vcc_lo, s13
	s_wait_loadcnt 0x0
	v_and_b32_e32 v26, 0xffff, v10
	s_delay_alu instid0(VALU_DEP_1) | instskip(SKIP_1) | instid1(VALU_DEP_1)
	v_lshlrev_b64_e32 v[26:27], s0, v[26:27]
	s_add_nc_u64 s[0:1], s[0:1], 8
	v_or_b32_e32 v23, v27, v23
	s_delay_alu instid0(VALU_DEP_2)
	v_or_b32_e32 v22, v26, v22
	s_and_not1_b32 exec_lo, exec_lo, s13
	s_cbranch_execnz .LBB9_46
; %bb.47:                               ;   in Loop: Header=BB9_3 Depth=1
	s_or_b32 exec_lo, exec_lo, s13
.LBB9_48:                               ;   in Loop: Header=BB9_3 Depth=1
	s_delay_alu instid0(SALU_CYCLE_1)
	s_or_b32 exec_lo, exec_lo, s12
	v_mov_b64_e32 v[26:27], v[24:25]
                                        ; implicit-def: $vgpr7
.LBB9_49:                               ;   in Loop: Header=BB9_3 Depth=1
	s_or_saveexec_b32 s0, s11
	v_mov_b32_e32 v10, 0
	s_xor_b32 exec_lo, exec_lo, s0
	s_cbranch_execz .LBB9_51
; %bb.50:                               ;   in Loop: Header=BB9_3 Depth=1
	global_load_b64 v[22:23], v[24:25], off
	v_add_nc_u32_e32 v10, -8, v7
.LBB9_51:                               ;   in Loop: Header=BB9_3 Depth=1
	s_wait_xcnt 0x0
	s_or_b32 exec_lo, exec_lo, s0
	s_delay_alu instid0(SALU_CYCLE_1) | instskip(NEXT) | instid1(VALU_DEP_1)
	s_mov_b32 s0, exec_lo
	v_cmpx_gt_u32_e32 8, v10
	s_xor_b32 s4, exec_lo, s0
	s_cbranch_execz .LBB9_57
; %bb.52:                               ;   in Loop: Header=BB9_3 Depth=1
	v_mov_b64_e32 v[24:25], 0
	s_mov_b32 s5, exec_lo
	v_cmpx_ne_u32_e32 0, v10
	s_cbranch_execz .LBB9_56
; %bb.53:                               ;   in Loop: Header=BB9_3 Depth=1
	v_mov_b64_e32 v[24:25], 0
	s_mov_b64 s[0:1], 0
	s_mov_b32 s11, 0
.LBB9_54:                               ;   Parent Loop BB9_3 Depth=1
                                        ; =>  This Inner Loop Header: Depth=2
	global_load_u8 v7, v[26:27], off
	v_dual_mov_b32 v29, s7 :: v_dual_add_nc_u32 v10, -1, v10
	s_wait_xcnt 0x0
	v_add_nc_u64_e32 v[26:27], 1, v[26:27]
	s_delay_alu instid0(VALU_DEP_2) | instskip(SKIP_3) | instid1(VALU_DEP_1)
	v_cmp_eq_u32_e32 vcc_lo, 0, v10
	s_or_b32 s11, vcc_lo, s11
	s_wait_loadcnt 0x0
	v_and_b32_e32 v28, 0xffff, v7
	v_lshlrev_b64_e32 v[28:29], s0, v[28:29]
	s_add_nc_u64 s[0:1], s[0:1], 8
	s_delay_alu instid0(VALU_DEP_1) | instskip(NEXT) | instid1(VALU_DEP_2)
	v_or_b32_e32 v25, v29, v25
	v_or_b32_e32 v24, v28, v24
	s_and_not1_b32 exec_lo, exec_lo, s11
	s_cbranch_execnz .LBB9_54
; %bb.55:                               ;   in Loop: Header=BB9_3 Depth=1
	s_or_b32 exec_lo, exec_lo, s11
.LBB9_56:                               ;   in Loop: Header=BB9_3 Depth=1
	s_delay_alu instid0(SALU_CYCLE_1)
	s_or_b32 exec_lo, exec_lo, s5
                                        ; implicit-def: $vgpr26_vgpr27
.LBB9_57:                               ;   in Loop: Header=BB9_3 Depth=1
	s_and_not1_saveexec_b32 s0, s4
	s_cbranch_execz .LBB9_59
; %bb.58:                               ;   in Loop: Header=BB9_3 Depth=1
	global_load_b64 v[24:25], v[26:27], off
.LBB9_59:                               ;   in Loop: Header=BB9_3 Depth=1
	s_wait_xcnt 0x0
	s_or_b32 exec_lo, exec_lo, s0
	v_readfirstlane_b32 s0, v30
	v_mov_b64_e32 v[34:35], 0
	s_delay_alu instid0(VALU_DEP_2)
	v_cmp_eq_u32_e64 s0, s0, v30
	s_and_saveexec_b32 s1, s0
	s_cbranch_execz .LBB9_65
; %bb.60:                               ;   in Loop: Header=BB9_3 Depth=1
	s_wait_kmcnt 0x0
	global_load_b64 v[28:29], v11, s[2:3] offset:24 scope:SCOPE_SYS
	s_wait_loadcnt 0x0
	global_inv scope:SCOPE_SYS
	s_clause 0x1
	global_load_b64 v[26:27], v11, s[2:3] offset:40
	global_load_b64 v[34:35], v11, s[2:3]
	s_mov_b32 s4, exec_lo
	s_wait_loadcnt 0x1
	v_and_b32_e32 v26, v26, v28
	v_and_b32_e32 v27, v27, v29
	s_delay_alu instid0(VALU_DEP_1) | instskip(SKIP_1) | instid1(VALU_DEP_1)
	v_mul_u64_e32 v[26:27], 24, v[26:27]
	s_wait_loadcnt 0x0
	v_add_nc_u64_e32 v[26:27], v[34:35], v[26:27]
	global_load_b64 v[26:27], v[26:27], off scope:SCOPE_SYS
	s_wait_xcnt 0x0
	s_wait_loadcnt 0x0
	global_atomic_cmpswap_b64 v[34:35], v11, v[26:29], s[2:3] offset:24 th:TH_ATOMIC_RETURN scope:SCOPE_SYS
	s_wait_loadcnt 0x0
	global_inv scope:SCOPE_SYS
	s_wait_xcnt 0x0
	v_cmpx_ne_u64_e64 v[34:35], v[28:29]
	s_cbranch_execz .LBB9_64
; %bb.61:                               ;   in Loop: Header=BB9_3 Depth=1
	s_mov_b32 s5, 0
.LBB9_62:                               ;   Parent Loop BB9_3 Depth=1
                                        ; =>  This Inner Loop Header: Depth=2
	s_sleep 1
	s_clause 0x1
	global_load_b64 v[26:27], v11, s[2:3] offset:40
	global_load_b64 v[36:37], v11, s[2:3]
	v_mov_b64_e32 v[28:29], v[34:35]
	s_wait_loadcnt 0x1
	s_delay_alu instid0(VALU_DEP_1) | instskip(SKIP_1) | instid1(VALU_DEP_1)
	v_and_b32_e32 v7, v26, v28
	s_wait_loadcnt 0x0
	v_mad_nc_u64_u32 v[34:35], v7, 24, v[36:37]
	s_delay_alu instid0(VALU_DEP_3) | instskip(NEXT) | instid1(VALU_DEP_1)
	v_and_b32_e32 v7, v27, v29
	v_mad_u32 v35, v7, 24, v35
	global_load_b64 v[26:27], v[34:35], off scope:SCOPE_SYS
	s_wait_xcnt 0x0
	s_wait_loadcnt 0x0
	global_atomic_cmpswap_b64 v[34:35], v11, v[26:29], s[2:3] offset:24 th:TH_ATOMIC_RETURN scope:SCOPE_SYS
	s_wait_loadcnt 0x0
	global_inv scope:SCOPE_SYS
	v_cmp_eq_u64_e32 vcc_lo, v[34:35], v[28:29]
	s_or_b32 s5, vcc_lo, s5
	s_wait_xcnt 0x0
	s_and_not1_b32 exec_lo, exec_lo, s5
	s_cbranch_execnz .LBB9_62
; %bb.63:                               ;   in Loop: Header=BB9_3 Depth=1
	s_or_b32 exec_lo, exec_lo, s5
.LBB9_64:                               ;   in Loop: Header=BB9_3 Depth=1
	s_delay_alu instid0(SALU_CYCLE_1)
	s_or_b32 exec_lo, exec_lo, s4
.LBB9_65:                               ;   in Loop: Header=BB9_3 Depth=1
	s_delay_alu instid0(SALU_CYCLE_1)
	s_or_b32 exec_lo, exec_lo, s1
	s_wait_kmcnt 0x0
	s_clause 0x1
	global_load_b64 v[36:37], v11, s[2:3] offset:40
	global_load_b128 v[26:29], v11, s[2:3]
	v_readfirstlane_b32 s4, v34
	v_readfirstlane_b32 s5, v35
	s_mov_b32 s1, exec_lo
	s_wait_loadcnt 0x1
	v_and_b32_e32 v36, s4, v36
	v_and_b32_e32 v37, s5, v37
	s_delay_alu instid0(VALU_DEP_1) | instskip(SKIP_1) | instid1(VALU_DEP_1)
	v_mul_u64_e32 v[34:35], 24, v[36:37]
	s_wait_loadcnt 0x0
	v_add_nc_u64_e32 v[34:35], v[26:27], v[34:35]
	s_wait_xcnt 0x0
	s_and_saveexec_b32 s11, s0
	s_cbranch_execz .LBB9_67
; %bb.66:                               ;   in Loop: Header=BB9_3 Depth=1
	v_mov_b32_e32 v10, s1
	global_store_b128 v[34:35], v[10:13], off offset:8
.LBB9_67:                               ;   in Loop: Header=BB9_3 Depth=1
	s_wait_xcnt 0x0
	s_or_b32 exec_lo, exec_lo, s11
	v_cmp_gt_u64_e32 vcc_lo, 57, v[4:5]
	v_lshlrev_b64_e32 v[36:37], 12, v[36:37]
	v_and_b32_e32 v0, 0xffffff1f, v0
	v_lshl_add_u32 v31, v32, 2, 28
	v_lshlrev_b32_e32 v10, 6, v30
	v_cndmask_b32_e32 v7, 0, v6, vcc_lo
	v_add_nc_u64_e32 v[28:29], v[28:29], v[36:37]
	s_delay_alu instid0(VALU_DEP_2) | instskip(NEXT) | instid1(VALU_DEP_2)
	v_or_b32_e32 v0, v0, v7
	v_readfirstlane_b32 s12, v28
	s_delay_alu instid0(VALU_DEP_3) | instskip(NEXT) | instid1(VALU_DEP_3)
	v_readfirstlane_b32 s13, v29
	v_and_or_b32 v0, 0x1e0, v31, v0
	s_clause 0x3
	global_store_b128 v10, v[0:3], s[12:13]
	global_store_b128 v10, v[14:17], s[12:13] offset:16
	global_store_b128 v10, v[18:21], s[12:13] offset:32
	global_store_b128 v10, v[22:25], s[12:13] offset:48
	s_wait_xcnt 0x0
	s_and_saveexec_b32 s1, s0
	s_cbranch_execz .LBB9_75
; %bb.68:                               ;   in Loop: Header=BB9_3 Depth=1
	s_clause 0x1
	global_load_b64 v[18:19], v11, s[2:3] offset:32 scope:SCOPE_SYS
	global_load_b64 v[0:1], v11, s[2:3] offset:40
	s_mov_b32 s11, exec_lo
	v_dual_mov_b32 v16, s4 :: v_dual_mov_b32 v17, s5
	s_wait_loadcnt 0x0
	v_and_b32_e32 v1, s5, v1
	v_and_b32_e32 v0, s4, v0
	s_delay_alu instid0(VALU_DEP_1) | instskip(NEXT) | instid1(VALU_DEP_1)
	v_mul_u64_e32 v[0:1], 24, v[0:1]
	v_add_nc_u64_e32 v[14:15], v[26:27], v[0:1]
	global_store_b64 v[14:15], v[18:19], off
	global_wb scope:SCOPE_SYS
	s_wait_storecnt 0x0
	s_wait_xcnt 0x0
	global_atomic_cmpswap_b64 v[2:3], v11, v[16:19], s[2:3] offset:32 th:TH_ATOMIC_RETURN scope:SCOPE_SYS
	s_wait_loadcnt 0x0
	v_cmpx_ne_u64_e64 v[2:3], v[18:19]
	s_cbranch_execz .LBB9_71
; %bb.69:                               ;   in Loop: Header=BB9_3 Depth=1
	s_mov_b32 s12, 0
.LBB9_70:                               ;   Parent Loop BB9_3 Depth=1
                                        ; =>  This Inner Loop Header: Depth=2
	v_dual_mov_b32 v0, s4 :: v_dual_mov_b32 v1, s5
	s_sleep 1
	global_store_b64 v[14:15], v[2:3], off
	global_wb scope:SCOPE_SYS
	s_wait_storecnt 0x0
	s_wait_xcnt 0x0
	global_atomic_cmpswap_b64 v[0:1], v11, v[0:3], s[2:3] offset:32 th:TH_ATOMIC_RETURN scope:SCOPE_SYS
	s_wait_loadcnt 0x0
	v_cmp_eq_u64_e32 vcc_lo, v[0:1], v[2:3]
	v_mov_b64_e32 v[2:3], v[0:1]
	s_or_b32 s12, vcc_lo, s12
	s_delay_alu instid0(SALU_CYCLE_1)
	s_and_not1_b32 exec_lo, exec_lo, s12
	s_cbranch_execnz .LBB9_70
.LBB9_71:                               ;   in Loop: Header=BB9_3 Depth=1
	s_or_b32 exec_lo, exec_lo, s11
	global_load_b64 v[0:1], v11, s[2:3] offset:16
	s_mov_b32 s12, exec_lo
	s_mov_b32 s11, exec_lo
	v_mbcnt_lo_u32_b32 v2, s12, 0
	s_wait_xcnt 0x0
	s_delay_alu instid0(VALU_DEP_1)
	v_cmpx_eq_u32_e32 0, v2
	s_cbranch_execz .LBB9_73
; %bb.72:                               ;   in Loop: Header=BB9_3 Depth=1
	s_bcnt1_i32_b32 s12, s12
	s_delay_alu instid0(SALU_CYCLE_1)
	v_dual_mov_b32 v3, v11 :: v_dual_mov_b32 v2, s12
	global_wb scope:SCOPE_SYS
	s_wait_loadcnt 0x0
	s_wait_storecnt 0x0
	global_atomic_add_u64 v[0:1], v[2:3], off offset:8 scope:SCOPE_SYS
.LBB9_73:                               ;   in Loop: Header=BB9_3 Depth=1
	s_wait_xcnt 0x0
	s_or_b32 exec_lo, exec_lo, s11
	s_wait_loadcnt 0x0
	global_load_b64 v[2:3], v[0:1], off offset:16
	s_wait_loadcnt 0x0
	v_cmp_eq_u64_e32 vcc_lo, 0, v[2:3]
	s_cbranch_vccnz .LBB9_75
; %bb.74:                               ;   in Loop: Header=BB9_3 Depth=1
	global_load_b32 v0, v[0:1], off offset:24
	s_wait_xcnt 0x0
	v_mov_b32_e32 v1, v11
	s_wait_loadcnt 0x0
	v_readfirstlane_b32 s11, v0
	global_wb scope:SCOPE_SYS
	s_wait_storecnt 0x0
	global_store_b64 v[2:3], v[0:1], off scope:SCOPE_SYS
	s_and_b32 m0, s11, 0xffffff
	s_sendmsg sendmsg(MSG_INTERRUPT)
.LBB9_75:                               ;   in Loop: Header=BB9_3 Depth=1
	s_wait_xcnt 0x0
	s_or_b32 exec_lo, exec_lo, s1
	v_add_nc_u64_e32 v[0:1], v[28:29], v[10:11]
	s_branch .LBB9_79
.LBB9_76:                               ;   in Loop: Header=BB9_79 Depth=2
	s_wait_xcnt 0x0
	s_or_b32 exec_lo, exec_lo, s1
	s_delay_alu instid0(VALU_DEP_1)
	v_readfirstlane_b32 s1, v2
	s_cmp_eq_u32 s1, 0
	s_cbranch_scc1 .LBB9_78
; %bb.77:                               ;   in Loop: Header=BB9_79 Depth=2
	s_sleep 1
	s_cbranch_execnz .LBB9_79
	s_branch .LBB9_81
.LBB9_78:                               ;   in Loop: Header=BB9_3 Depth=1
	s_branch .LBB9_81
.LBB9_79:                               ;   Parent Loop BB9_3 Depth=1
                                        ; =>  This Inner Loop Header: Depth=2
	v_mov_b32_e32 v2, 1
	s_and_saveexec_b32 s1, s0
	s_cbranch_execz .LBB9_76
; %bb.80:                               ;   in Loop: Header=BB9_79 Depth=2
	global_load_b32 v2, v[34:35], off offset:20 scope:SCOPE_SYS
	s_wait_loadcnt 0x0
	global_inv scope:SCOPE_SYS
	v_and_b32_e32 v2, 1, v2
	s_branch .LBB9_76
.LBB9_81:                               ;   in Loop: Header=BB9_3 Depth=1
	global_load_b128 v[0:3], v[0:1], off
	s_wait_xcnt 0x0
	s_and_saveexec_b32 s11, s0
	s_cbranch_execz .LBB9_2
; %bb.82:                               ;   in Loop: Header=BB9_3 Depth=1
	s_wait_loadcnt 0x0
	s_clause 0x2
	global_load_b64 v[2:3], v11, s[2:3] offset:40
	global_load_b64 v[18:19], v11, s[2:3] offset:24 scope:SCOPE_SYS
	global_load_b64 v[14:15], v11, s[2:3]
	s_wait_loadcnt 0x2
	v_readfirstlane_b32 s12, v2
	v_readfirstlane_b32 s13, v3
	s_add_nc_u64 s[0:1], s[12:13], 1
	s_delay_alu instid0(SALU_CYCLE_1) | instskip(NEXT) | instid1(SALU_CYCLE_1)
	s_add_nc_u64 s[4:5], s[0:1], s[4:5]
	s_cmp_eq_u64 s[4:5], 0
	s_cselect_b32 s1, s1, s5
	s_cselect_b32 s0, s0, s4
	s_delay_alu instid0(SALU_CYCLE_1) | instskip(SKIP_1) | instid1(SALU_CYCLE_1)
	v_dual_mov_b32 v17, s1 :: v_dual_mov_b32 v16, s0
	s_and_b64 s[4:5], s[0:1], s[12:13]
	s_mul_u64 s[4:5], s[4:5], 24
	s_wait_loadcnt 0x0
	v_add_nc_u64_e32 v[2:3], s[4:5], v[14:15]
	global_store_b64 v[2:3], v[18:19], off
	global_wb scope:SCOPE_SYS
	s_wait_storecnt 0x0
	s_wait_xcnt 0x0
	global_atomic_cmpswap_b64 v[16:17], v11, v[16:19], s[2:3] offset:24 th:TH_ATOMIC_RETURN scope:SCOPE_SYS
	s_wait_loadcnt 0x0
	v_cmp_ne_u64_e32 vcc_lo, v[16:17], v[18:19]
	s_and_b32 exec_lo, exec_lo, vcc_lo
	s_cbranch_execz .LBB9_2
; %bb.83:                               ;   in Loop: Header=BB9_3 Depth=1
	s_mov_b32 s4, 0
.LBB9_84:                               ;   Parent Loop BB9_3 Depth=1
                                        ; =>  This Inner Loop Header: Depth=2
	v_dual_mov_b32 v14, s0 :: v_dual_mov_b32 v15, s1
	s_sleep 1
	global_store_b64 v[2:3], v[16:17], off
	global_wb scope:SCOPE_SYS
	s_wait_storecnt 0x0
	s_wait_xcnt 0x0
	global_atomic_cmpswap_b64 v[14:15], v11, v[14:17], s[2:3] offset:24 th:TH_ATOMIC_RETURN scope:SCOPE_SYS
	s_wait_loadcnt 0x0
	v_cmp_eq_u64_e32 vcc_lo, v[14:15], v[16:17]
	v_mov_b64_e32 v[16:17], v[14:15]
	s_or_b32 s4, vcc_lo, s4
	s_delay_alu instid0(SALU_CYCLE_1)
	s_and_not1_b32 exec_lo, exec_lo, s4
	s_cbranch_execnz .LBB9_84
	s_branch .LBB9_2
.LBB9_85:
	s_or_b32 exec_lo, exec_lo, s10
                                        ; implicit-def: $vgpr0
                                        ; implicit-def: $vgpr30
                                        ; implicit-def: $vgpr1
.LBB9_86:
	s_and_not1_saveexec_b32 s6, s6
	s_cbranch_execz .LBB9_108
; %bb.87:
	s_load_b64 s[2:3], s[8:9], 0x50
	v_readfirstlane_b32 s0, v30
	v_mov_b64_e32 v[8:9], 0
	s_delay_alu instid0(VALU_DEP_2)
	v_cmp_eq_u32_e64 s0, s0, v30
	s_and_saveexec_b32 s1, s0
	s_cbranch_execz .LBB9_93
; %bb.88:
	s_wait_loadcnt 0x0
	v_mov_b32_e32 v2, 0
	s_mov_b32 s4, exec_lo
	s_wait_kmcnt 0x0
	global_load_b64 v[6:7], v2, s[2:3] offset:24 scope:SCOPE_SYS
	s_wait_loadcnt 0x0
	global_inv scope:SCOPE_SYS
	s_clause 0x1
	global_load_b64 v[4:5], v2, s[2:3] offset:40
	global_load_b64 v[8:9], v2, s[2:3]
	s_wait_loadcnt 0x1
	v_and_b32_e32 v4, v4, v6
	v_and_b32_e32 v5, v5, v7
	s_delay_alu instid0(VALU_DEP_1) | instskip(SKIP_1) | instid1(VALU_DEP_1)
	v_mul_u64_e32 v[4:5], 24, v[4:5]
	s_wait_loadcnt 0x0
	v_add_nc_u64_e32 v[4:5], v[8:9], v[4:5]
	global_load_b64 v[4:5], v[4:5], off scope:SCOPE_SYS
	s_wait_xcnt 0x0
	s_wait_loadcnt 0x0
	global_atomic_cmpswap_b64 v[8:9], v2, v[4:7], s[2:3] offset:24 th:TH_ATOMIC_RETURN scope:SCOPE_SYS
	s_wait_loadcnt 0x0
	global_inv scope:SCOPE_SYS
	s_wait_xcnt 0x0
	v_cmpx_ne_u64_e64 v[8:9], v[6:7]
	s_cbranch_execz .LBB9_92
; %bb.89:
	s_mov_b32 s5, 0
.LBB9_90:                               ; =>This Inner Loop Header: Depth=1
	s_sleep 1
	s_clause 0x1
	global_load_b64 v[4:5], v2, s[2:3] offset:40
	global_load_b64 v[10:11], v2, s[2:3]
	v_mov_b64_e32 v[6:7], v[8:9]
	s_wait_loadcnt 0x1
	s_delay_alu instid0(VALU_DEP_1) | instskip(SKIP_1) | instid1(VALU_DEP_1)
	v_and_b32_e32 v3, v4, v6
	s_wait_loadcnt 0x0
	v_mad_nc_u64_u32 v[8:9], v3, 24, v[10:11]
	s_delay_alu instid0(VALU_DEP_3) | instskip(NEXT) | instid1(VALU_DEP_1)
	v_and_b32_e32 v3, v5, v7
	v_mad_u32 v9, v3, 24, v9
	global_load_b64 v[4:5], v[8:9], off scope:SCOPE_SYS
	s_wait_xcnt 0x0
	s_wait_loadcnt 0x0
	global_atomic_cmpswap_b64 v[8:9], v2, v[4:7], s[2:3] offset:24 th:TH_ATOMIC_RETURN scope:SCOPE_SYS
	s_wait_loadcnt 0x0
	global_inv scope:SCOPE_SYS
	v_cmp_eq_u64_e32 vcc_lo, v[8:9], v[6:7]
	s_or_b32 s5, vcc_lo, s5
	s_wait_xcnt 0x0
	s_and_not1_b32 exec_lo, exec_lo, s5
	s_cbranch_execnz .LBB9_90
; %bb.91:
	s_or_b32 exec_lo, exec_lo, s5
.LBB9_92:
	s_delay_alu instid0(SALU_CYCLE_1)
	s_or_b32 exec_lo, exec_lo, s4
.LBB9_93:
	s_delay_alu instid0(SALU_CYCLE_1)
	s_or_b32 exec_lo, exec_lo, s1
	v_readfirstlane_b32 s4, v8
	s_wait_loadcnt 0x0
	v_mov_b32_e32 v2, 0
	v_readfirstlane_b32 s5, v9
	s_mov_b32 s1, exec_lo
	s_wait_kmcnt 0x0
	s_clause 0x1
	global_load_b64 v[10:11], v2, s[2:3] offset:40
	global_load_b128 v[4:7], v2, s[2:3]
	s_wait_loadcnt 0x1
	v_and_b32_e32 v10, s4, v10
	v_and_b32_e32 v11, s5, v11
	s_delay_alu instid0(VALU_DEP_1) | instskip(SKIP_1) | instid1(VALU_DEP_1)
	v_mul_u64_e32 v[8:9], 24, v[10:11]
	s_wait_loadcnt 0x0
	v_add_nc_u64_e32 v[8:9], v[4:5], v[8:9]
	s_wait_xcnt 0x0
	s_and_saveexec_b32 s7, s0
	s_cbranch_execz .LBB9_95
; %bb.94:
	v_mov_b64_e32 v[14:15], 0x100000002
	v_dual_mov_b32 v12, s1 :: v_dual_mov_b32 v13, v2
	global_store_b128 v[8:9], v[12:15], off offset:8
.LBB9_95:
	s_wait_xcnt 0x0
	s_or_b32 exec_lo, exec_lo, s7
	v_lshlrev_b64_e32 v[10:11], 12, v[10:11]
	s_mov_b32 s8, 0
	v_and_or_b32 v0, 0xffffff1f, v0, 32
	s_mov_b32 s10, s8
	s_mov_b32 s11, s8
	;; [unrolled: 1-line block ×3, first 2 shown]
	v_dual_mov_b32 v3, v2 :: v_dual_lshlrev_b32 v14, 6, v30
	v_add_nc_u64_e32 v[6:7], v[6:7], v[10:11]
	v_mov_b64_e32 v[12:13], s[10:11]
	v_mov_b64_e32 v[10:11], s[8:9]
	s_delay_alu instid0(VALU_DEP_3) | instskip(NEXT) | instid1(VALU_DEP_4)
	v_readfirstlane_b32 s12, v6
	v_readfirstlane_b32 s13, v7
	s_clause 0x3
	global_store_b128 v14, v[0:3], s[12:13]
	global_store_b128 v14, v[10:13], s[12:13] offset:16
	global_store_b128 v14, v[10:13], s[12:13] offset:32
	;; [unrolled: 1-line block ×3, first 2 shown]
	s_wait_xcnt 0x0
	s_and_saveexec_b32 s1, s0
	s_cbranch_execz .LBB9_102
; %bb.96:
	v_dual_mov_b32 v6, 0 :: v_dual_mov_b32 v11, s5
	s_mov_b32 s7, exec_lo
	s_clause 0x1
	global_load_b64 v[12:13], v6, s[2:3] offset:32 scope:SCOPE_SYS
	global_load_b64 v[0:1], v6, s[2:3] offset:40
	s_wait_loadcnt 0x0
	v_dual_mov_b32 v10, s4 :: v_dual_bitop2_b32 v1, s5, v1 bitop3:0x40
	v_and_b32_e32 v0, s4, v0
	s_delay_alu instid0(VALU_DEP_1) | instskip(NEXT) | instid1(VALU_DEP_1)
	v_mul_u64_e32 v[0:1], 24, v[0:1]
	v_add_nc_u64_e32 v[4:5], v[4:5], v[0:1]
	global_store_b64 v[4:5], v[12:13], off
	global_wb scope:SCOPE_SYS
	s_wait_storecnt 0x0
	s_wait_xcnt 0x0
	global_atomic_cmpswap_b64 v[2:3], v6, v[10:13], s[2:3] offset:32 th:TH_ATOMIC_RETURN scope:SCOPE_SYS
	s_wait_loadcnt 0x0
	v_cmpx_ne_u64_e64 v[2:3], v[12:13]
	s_cbranch_execz .LBB9_98
.LBB9_97:                               ; =>This Inner Loop Header: Depth=1
	v_dual_mov_b32 v0, s4 :: v_dual_mov_b32 v1, s5
	s_sleep 1
	global_store_b64 v[4:5], v[2:3], off
	global_wb scope:SCOPE_SYS
	s_wait_storecnt 0x0
	s_wait_xcnt 0x0
	global_atomic_cmpswap_b64 v[0:1], v6, v[0:3], s[2:3] offset:32 th:TH_ATOMIC_RETURN scope:SCOPE_SYS
	s_wait_loadcnt 0x0
	v_cmp_eq_u64_e32 vcc_lo, v[0:1], v[2:3]
	v_mov_b64_e32 v[2:3], v[0:1]
	s_or_b32 s8, vcc_lo, s8
	s_delay_alu instid0(SALU_CYCLE_1)
	s_and_not1_b32 exec_lo, exec_lo, s8
	s_cbranch_execnz .LBB9_97
.LBB9_98:
	s_or_b32 exec_lo, exec_lo, s7
	v_mov_b32_e32 v3, 0
	s_mov_b32 s8, exec_lo
	s_mov_b32 s7, exec_lo
	v_mbcnt_lo_u32_b32 v2, s8, 0
	global_load_b64 v[0:1], v3, s[2:3] offset:16
	s_wait_xcnt 0x0
	v_cmpx_eq_u32_e32 0, v2
	s_cbranch_execz .LBB9_100
; %bb.99:
	s_bcnt1_i32_b32 s8, s8
	s_delay_alu instid0(SALU_CYCLE_1)
	v_mov_b32_e32 v2, s8
	global_wb scope:SCOPE_SYS
	s_wait_loadcnt 0x0
	s_wait_storecnt 0x0
	global_atomic_add_u64 v[0:1], v[2:3], off offset:8 scope:SCOPE_SYS
.LBB9_100:
	s_wait_xcnt 0x0
	s_or_b32 exec_lo, exec_lo, s7
	s_wait_loadcnt 0x0
	global_load_b64 v[2:3], v[0:1], off offset:16
	s_wait_loadcnt 0x0
	v_cmp_eq_u64_e32 vcc_lo, 0, v[2:3]
	s_cbranch_vccnz .LBB9_102
; %bb.101:
	global_load_b32 v0, v[0:1], off offset:24
	s_wait_xcnt 0x0
	v_mov_b32_e32 v1, 0
	s_wait_loadcnt 0x0
	v_readfirstlane_b32 s7, v0
	global_wb scope:SCOPE_SYS
	s_wait_storecnt 0x0
	global_store_b64 v[2:3], v[0:1], off scope:SCOPE_SYS
	s_and_b32 m0, s7, 0xffffff
	s_sendmsg sendmsg(MSG_INTERRUPT)
.LBB9_102:
	s_wait_xcnt 0x0
	s_or_b32 exec_lo, exec_lo, s1
	s_branch .LBB9_106
.LBB9_103:                              ;   in Loop: Header=BB9_106 Depth=1
	s_wait_xcnt 0x0
	s_or_b32 exec_lo, exec_lo, s1
	s_delay_alu instid0(VALU_DEP_1)
	v_readfirstlane_b32 s1, v0
	s_cmp_eq_u32 s1, 0
	s_cbranch_scc1 .LBB9_105
; %bb.104:                              ;   in Loop: Header=BB9_106 Depth=1
	s_sleep 1
	s_cbranch_execnz .LBB9_106
	s_branch .LBB9_109
.LBB9_105:
	s_branch .LBB9_109
.LBB9_106:                              ; =>This Inner Loop Header: Depth=1
	v_mov_b32_e32 v0, 1
	s_and_saveexec_b32 s1, s0
	s_cbranch_execz .LBB9_103
; %bb.107:                              ;   in Loop: Header=BB9_106 Depth=1
	global_load_b32 v0, v[8:9], off offset:20 scope:SCOPE_SYS
	s_wait_loadcnt 0x0
	global_inv scope:SCOPE_SYS
	v_and_b32_e32 v0, 1, v0
	s_branch .LBB9_103
.LBB9_108:
	s_or_b32 exec_lo, exec_lo, s6
	s_wait_loadcnt 0x0
	s_wait_kmcnt 0x0
	s_set_pc_i64 s[30:31]
.LBB9_109:
	s_and_saveexec_b32 s7, s0
	s_cbranch_execz .LBB9_113
; %bb.110:
	v_mov_b32_e32 v6, 0
	s_clause 0x2
	global_load_b64 v[0:1], v6, s[2:3] offset:40
	global_load_b64 v[10:11], v6, s[2:3] offset:24 scope:SCOPE_SYS
	global_load_b64 v[2:3], v6, s[2:3]
	s_wait_loadcnt 0x2
	v_readfirstlane_b32 s8, v0
	v_readfirstlane_b32 s9, v1
	s_add_nc_u64 s[0:1], s[8:9], 1
	s_delay_alu instid0(SALU_CYCLE_1) | instskip(NEXT) | instid1(SALU_CYCLE_1)
	s_add_nc_u64 s[4:5], s[0:1], s[4:5]
	s_cmp_eq_u64 s[4:5], 0
	s_cselect_b32 s1, s1, s5
	s_cselect_b32 s0, s0, s4
	v_mov_b32_e32 v9, s1
	s_and_b64 s[4:5], s[0:1], s[8:9]
	v_mov_b32_e32 v8, s0
	s_mul_u64 s[4:5], s[4:5], 24
	s_wait_loadcnt 0x0
	v_add_nc_u64_e32 v[4:5], s[4:5], v[2:3]
	global_store_b64 v[4:5], v[10:11], off
	global_wb scope:SCOPE_SYS
	s_wait_storecnt 0x0
	s_wait_xcnt 0x0
	global_atomic_cmpswap_b64 v[2:3], v6, v[8:11], s[2:3] offset:24 th:TH_ATOMIC_RETURN scope:SCOPE_SYS
	s_wait_loadcnt 0x0
	v_cmp_ne_u64_e32 vcc_lo, v[2:3], v[10:11]
	s_and_b32 exec_lo, exec_lo, vcc_lo
	s_cbranch_execz .LBB9_113
; %bb.111:
	s_mov_b32 s4, 0
.LBB9_112:                              ; =>This Inner Loop Header: Depth=1
	v_dual_mov_b32 v0, s0 :: v_dual_mov_b32 v1, s1
	s_sleep 1
	global_store_b64 v[4:5], v[2:3], off
	global_wb scope:SCOPE_SYS
	s_wait_storecnt 0x0
	s_wait_xcnt 0x0
	global_atomic_cmpswap_b64 v[0:1], v6, v[0:3], s[2:3] offset:24 th:TH_ATOMIC_RETURN scope:SCOPE_SYS
	s_wait_loadcnt 0x0
	v_cmp_eq_u64_e32 vcc_lo, v[0:1], v[2:3]
	v_mov_b64_e32 v[2:3], v[0:1]
	s_or_b32 s4, vcc_lo, s4
	s_delay_alu instid0(SALU_CYCLE_1)
	s_and_not1_b32 exec_lo, exec_lo, s4
	s_cbranch_execnz .LBB9_112
.LBB9_113:
	s_or_b32 exec_lo, exec_lo, s7
	s_delay_alu instid0(SALU_CYCLE_1)
	s_or_b32 exec_lo, exec_lo, s6
	s_wait_loadcnt 0x0
	s_wait_kmcnt 0x0
	s_set_pc_i64 s[30:31]
.Lfunc_end9:
	.size	__ockl_fprintf_append_string_n, .Lfunc_end9-__ockl_fprintf_append_string_n
                                        ; -- End function
	.set .L__ockl_fprintf_append_string_n.num_vgpr, 38
	.set .L__ockl_fprintf_append_string_n.num_agpr, 0
	.set .L__ockl_fprintf_append_string_n.numbered_sgpr, 32
	.set .L__ockl_fprintf_append_string_n.num_named_barrier, 0
	.set .L__ockl_fprintf_append_string_n.private_seg_size, 0
	.set .L__ockl_fprintf_append_string_n.uses_vcc, 1
	.set .L__ockl_fprintf_append_string_n.uses_flat_scratch, 0
	.set .L__ockl_fprintf_append_string_n.has_dyn_sized_stack, 0
	.set .L__ockl_fprintf_append_string_n.has_recursion, 0
	.set .L__ockl_fprintf_append_string_n.has_indirect_call, 0
	.section	.AMDGPU.csdata,"",@progbits
; Function info:
; codeLenInByte = 4324
; TotalNumSgprs: 34
; NumVgprs: 38
; ScratchSize: 0
; MemoryBound: 0
	.text
	.p2align	2                               ; -- Begin function __assert_fail
	.type	__assert_fail,@function
__assert_fail:                          ; @__assert_fail
; %bb.0:
	s_wait_loadcnt_dscnt 0x0
	s_wait_kmcnt 0x0
	s_mov_b32 s16, s33
	s_mov_b32 s33, s32
	s_or_saveexec_b32 s0, -1
	scratch_store_b32 off, v40, s33 offset:48 ; 4-byte Folded Spill
	s_wait_xcnt 0x0
	s_mov_b32 exec_lo, s0
	v_writelane_b32 v40, s30, 0
	s_add_co_i32 s32, s32, 64
	v_writelane_b32 v40, s31, 1
	v_dual_mov_b32 v37, v6 :: v_dual_mov_b32 v36, v5
	v_mov_b32_e32 v5, 0
	s_get_pc_i64 s[0:1]
	s_add_nc_u64 s[0:1], s[0:1], __const.__assert_fail.fmt@rel64+35
	s_get_pc_i64 s[10:11]
	s_add_nc_u64 s[10:11], s[10:11], __const.__assert_fail.fmt@rel64+20
	v_mbcnt_lo_u32_b32 v54, -1, 0
	v_dual_mov_b32 v7, v1 :: v_dual_mov_b32 v6, v0
	global_load_b128 v[8:11], v5, s[0:1]
	s_wait_xcnt 0x0
	s_get_pc_i64 s[0:1]
	s_add_nc_u64 s[0:1], s[0:1], __const.__assert_fail.fmt@rel64+4
	s_clause 0x1
	s_load_b128 s[4:7], s[0:1], 0x0
	s_load_b128 s[12:15], s[10:11], 0x0
	s_load_b64 s[2:3], s[8:9], 0x50
	s_wait_xcnt 0x0
	v_readfirstlane_b32 s0, v54
	v_mov_b64_e32 v[0:1], 0
	s_delay_alu instid0(VALU_DEP_2)
	v_cmp_eq_u32_e64 s0, s0, v54
	s_wait_kmcnt 0x0
	v_mov_b64_e32 v[14:15], s[6:7]
	v_mov_b64_e32 v[12:13], s[4:5]
	;; [unrolled: 1-line block ×4, first 2 shown]
	s_clause 0x1
	scratch_store_b128 off, v[12:15], s33
	scratch_store_b128 off, v[16:19], s33 offset:16
	s_wait_loadcnt 0x0
	scratch_store_b128 off, v[8:11], s33 offset:31
	s_wait_xcnt 0x0
	s_and_saveexec_b32 s1, s0
	s_cbranch_execz .LBB10_6
; %bb.1:
	global_load_b64 v[10:11], v5, s[2:3] offset:24 scope:SCOPE_SYS
	s_wait_loadcnt 0x0
	global_inv scope:SCOPE_SYS
	s_clause 0x1
	global_load_b64 v[0:1], v5, s[2:3] offset:40
	global_load_b64 v[8:9], v5, s[2:3]
	s_mov_b32 s4, exec_lo
	s_wait_loadcnt 0x1
	v_and_b32_e32 v0, v0, v10
	v_and_b32_e32 v1, v1, v11
	s_delay_alu instid0(VALU_DEP_1) | instskip(SKIP_1) | instid1(VALU_DEP_1)
	v_mul_u64_e32 v[0:1], 24, v[0:1]
	s_wait_loadcnt 0x0
	v_add_nc_u64_e32 v[0:1], v[8:9], v[0:1]
	global_load_b64 v[8:9], v[0:1], off scope:SCOPE_SYS
	s_wait_xcnt 0x0
	s_wait_loadcnt 0x0
	global_atomic_cmpswap_b64 v[0:1], v5, v[8:11], s[2:3] offset:24 th:TH_ATOMIC_RETURN scope:SCOPE_SYS
	s_wait_loadcnt 0x0
	global_inv scope:SCOPE_SYS
	s_wait_xcnt 0x0
	v_cmpx_ne_u64_e64 v[0:1], v[10:11]
	s_cbranch_execz .LBB10_5
; %bb.2:
	v_mov_b32_e32 v8, 0
	s_mov_b32 s5, 0
.LBB10_3:                               ; =>This Inner Loop Header: Depth=1
	s_sleep 1
	s_clause 0x1
	global_load_b64 v[10:11], v8, s[2:3] offset:40
	global_load_b64 v[14:15], v8, s[2:3]
	v_mov_b64_e32 v[12:13], v[0:1]
	s_wait_loadcnt 0x1
	s_delay_alu instid0(VALU_DEP_1) | instskip(NEXT) | instid1(VALU_DEP_2)
	v_and_b32_e32 v0, v10, v12
	v_and_b32_e32 v9, v11, v13
	s_wait_loadcnt 0x0
	s_delay_alu instid0(VALU_DEP_2) | instskip(NEXT) | instid1(VALU_DEP_1)
	v_mad_nc_u64_u32 v[0:1], v0, 24, v[14:15]
	v_mad_u32 v1, v9, 24, v1
	global_load_b64 v[10:11], v[0:1], off scope:SCOPE_SYS
	s_wait_xcnt 0x0
	s_wait_loadcnt 0x0
	global_atomic_cmpswap_b64 v[0:1], v8, v[10:13], s[2:3] offset:24 th:TH_ATOMIC_RETURN scope:SCOPE_SYS
	s_wait_loadcnt 0x0
	global_inv scope:SCOPE_SYS
	v_cmp_eq_u64_e32 vcc_lo, v[0:1], v[12:13]
	s_or_b32 s5, vcc_lo, s5
	s_wait_xcnt 0x0
	s_and_not1_b32 exec_lo, exec_lo, s5
	s_cbranch_execnz .LBB10_3
; %bb.4:
	s_or_b32 exec_lo, exec_lo, s5
.LBB10_5:
	s_delay_alu instid0(SALU_CYCLE_1)
	s_or_b32 exec_lo, exec_lo, s4
.LBB10_6:
	s_delay_alu instid0(SALU_CYCLE_1)
	s_or_b32 exec_lo, exec_lo, s1
	s_clause 0x1
	global_load_b64 v[12:13], v5, s[2:3] offset:40
	global_load_b128 v[8:11], v5, s[2:3]
	v_readfirstlane_b32 s4, v0
	v_readfirstlane_b32 s5, v1
	s_mov_b32 s1, exec_lo
	s_wait_loadcnt 0x1
	v_and_b32_e32 v12, s4, v12
	v_and_b32_e32 v13, s5, v13
	s_delay_alu instid0(VALU_DEP_1) | instskip(SKIP_1) | instid1(VALU_DEP_1)
	v_mul_u64_e32 v[0:1], 24, v[12:13]
	s_wait_loadcnt 0x0
	v_add_nc_u64_e32 v[0:1], v[8:9], v[0:1]
	s_wait_xcnt 0x0
	s_and_saveexec_b32 s6, s0
	s_cbranch_execz .LBB10_8
; %bb.7:
	v_mov_b64_e32 v[16:17], 0x100000002
	v_dual_mov_b32 v14, s1 :: v_dual_mov_b32 v15, 0
	global_store_b128 v[0:1], v[14:17], off offset:8
.LBB10_8:
	s_wait_xcnt 0x0
	s_or_b32 exec_lo, exec_lo, s6
	v_lshlrev_b64_e32 v[12:13], 12, v[12:13]
	s_mov_b32 s12, 0
	v_dual_mov_b32 v35, 0 :: v_dual_lshlrev_b32 v34, 6, v54
	s_mov_b32 s14, s12
	s_mov_b32 s15, s12
	s_mov_b32 s13, s12
	s_delay_alu instid0(VALU_DEP_2)
	v_add_nc_u64_e32 v[12:13], v[10:11], v[12:13]
	v_mov_b64_e32 v[20:21], s[14:15]
	v_mov_b64_e32 v[18:19], s[12:13]
	v_dual_mov_b32 v14, 33 :: v_dual_mov_b32 v16, 1
	v_dual_mov_b32 v15, v35 :: v_dual_mov_b32 v17, v35
	v_readfirstlane_b32 s6, v12
	v_readfirstlane_b32 s7, v13
	s_clause 0x3
	global_store_b128 v34, v[14:17], s[6:7]
	global_store_b128 v34, v[18:21], s[6:7] offset:16
	global_store_b128 v34, v[18:21], s[6:7] offset:32
	;; [unrolled: 1-line block ×3, first 2 shown]
	s_wait_xcnt 0x0
	s_and_saveexec_b32 s1, s0
	s_cbranch_execz .LBB10_16
; %bb.9:
	s_clause 0x1
	global_load_b64 v[18:19], v35, s[2:3] offset:32 scope:SCOPE_SYS
	global_load_b64 v[10:11], v35, s[2:3] offset:40
	s_mov_b32 s6, exec_lo
	v_dual_mov_b32 v16, s4 :: v_dual_mov_b32 v17, s5
	s_wait_loadcnt 0x0
	v_and_b32_e32 v11, s5, v11
	v_and_b32_e32 v10, s4, v10
	s_delay_alu instid0(VALU_DEP_1) | instskip(NEXT) | instid1(VALU_DEP_1)
	v_mul_u64_e32 v[10:11], 24, v[10:11]
	v_add_nc_u64_e32 v[14:15], v[8:9], v[10:11]
	global_store_b64 v[14:15], v[18:19], off
	global_wb scope:SCOPE_SYS
	s_wait_storecnt 0x0
	s_wait_xcnt 0x0
	global_atomic_cmpswap_b64 v[10:11], v35, v[16:19], s[2:3] offset:32 th:TH_ATOMIC_RETURN scope:SCOPE_SYS
	s_wait_loadcnt 0x0
	v_cmpx_ne_u64_e64 v[10:11], v[18:19]
	s_cbranch_execz .LBB10_12
; %bb.10:
	v_mov_b32_e32 v5, 0
	s_mov_b32 s7, 0
.LBB10_11:                              ; =>This Inner Loop Header: Depth=1
	v_dual_mov_b32 v8, s4 :: v_dual_mov_b32 v9, s5
	s_sleep 1
	global_store_b64 v[14:15], v[10:11], off
	global_wb scope:SCOPE_SYS
	s_wait_storecnt 0x0
	s_wait_xcnt 0x0
	global_atomic_cmpswap_b64 v[8:9], v5, v[8:11], s[2:3] offset:32 th:TH_ATOMIC_RETURN scope:SCOPE_SYS
	s_wait_loadcnt 0x0
	v_cmp_eq_u64_e32 vcc_lo, v[8:9], v[10:11]
	v_mov_b64_e32 v[10:11], v[8:9]
	s_or_b32 s7, vcc_lo, s7
	s_delay_alu instid0(SALU_CYCLE_1)
	s_and_not1_b32 exec_lo, exec_lo, s7
	s_cbranch_execnz .LBB10_11
.LBB10_12:
	s_or_b32 exec_lo, exec_lo, s6
	v_mov_b32_e32 v11, 0
	s_mov_b32 s7, exec_lo
	s_mov_b32 s6, exec_lo
	v_mbcnt_lo_u32_b32 v5, s7, 0
	global_load_b64 v[8:9], v11, s[2:3] offset:16
	s_wait_xcnt 0x0
	v_cmpx_eq_u32_e32 0, v5
	s_cbranch_execz .LBB10_14
; %bb.13:
	s_bcnt1_i32_b32 s7, s7
	s_delay_alu instid0(SALU_CYCLE_1)
	v_mov_b32_e32 v10, s7
	global_wb scope:SCOPE_SYS
	s_wait_loadcnt 0x0
	s_wait_storecnt 0x0
	global_atomic_add_u64 v[8:9], v[10:11], off offset:8 scope:SCOPE_SYS
.LBB10_14:
	s_wait_xcnt 0x0
	s_or_b32 exec_lo, exec_lo, s6
	s_wait_loadcnt 0x0
	global_load_b64 v[10:11], v[8:9], off offset:16
	s_wait_loadcnt 0x0
	v_cmp_eq_u64_e32 vcc_lo, 0, v[10:11]
	s_cbranch_vccnz .LBB10_16
; %bb.15:
	global_load_b32 v8, v[8:9], off offset:24
	s_wait_xcnt 0x0
	v_mov_b32_e32 v9, 0
	s_wait_loadcnt 0x0
	v_readfirstlane_b32 s6, v8
	global_wb scope:SCOPE_SYS
	s_wait_storecnt 0x0
	global_store_b64 v[10:11], v[8:9], off scope:SCOPE_SYS
	s_and_b32 m0, s6, 0xffffff
	s_sendmsg sendmsg(MSG_INTERRUPT)
.LBB10_16:
	s_wait_xcnt 0x0
	s_or_b32 exec_lo, exec_lo, s1
	v_add_nc_u64_e32 v[8:9], v[12:13], v[34:35]
	s_branch .LBB10_20
.LBB10_17:                              ;   in Loop: Header=BB10_20 Depth=1
	s_wait_xcnt 0x0
	s_or_b32 exec_lo, exec_lo, s1
	s_delay_alu instid0(VALU_DEP_1)
	v_readfirstlane_b32 s1, v5
	s_cmp_eq_u32 s1, 0
	s_cbranch_scc1 .LBB10_19
; %bb.18:                               ;   in Loop: Header=BB10_20 Depth=1
	s_sleep 1
	s_cbranch_execnz .LBB10_20
	s_branch .LBB10_22
.LBB10_19:
	s_branch .LBB10_22
.LBB10_20:                              ; =>This Inner Loop Header: Depth=1
	v_mov_b32_e32 v5, 1
	s_and_saveexec_b32 s1, s0
	s_cbranch_execz .LBB10_17
; %bb.21:                               ;   in Loop: Header=BB10_20 Depth=1
	global_load_b32 v5, v[0:1], off offset:20 scope:SCOPE_SYS
	s_wait_loadcnt 0x0
	global_inv scope:SCOPE_SYS
	v_and_b32_e32 v5, 1, v5
	s_branch .LBB10_17
.LBB10_22:
	global_load_b64 v[12:13], v[8:9], off
	s_wait_xcnt 0x0
	s_and_saveexec_b32 s6, s0
	s_cbranch_execz .LBB10_26
; %bb.23:
	v_mov_b32_e32 v5, 0
	s_clause 0x2
	global_load_b64 v[0:1], v5, s[2:3] offset:40
	global_load_b64 v[16:17], v5, s[2:3] offset:24 scope:SCOPE_SYS
	global_load_b64 v[8:9], v5, s[2:3]
	s_wait_loadcnt 0x2
	v_readfirstlane_b32 s10, v0
	v_readfirstlane_b32 s11, v1
	s_add_nc_u64 s[0:1], s[10:11], 1
	s_delay_alu instid0(SALU_CYCLE_1) | instskip(NEXT) | instid1(SALU_CYCLE_1)
	s_add_nc_u64 s[4:5], s[0:1], s[4:5]
	s_cmp_eq_u64 s[4:5], 0
	s_cselect_b32 s1, s1, s5
	s_cselect_b32 s0, s0, s4
	v_mov_b32_e32 v15, s1
	s_and_b64 s[4:5], s[0:1], s[10:11]
	v_mov_b32_e32 v14, s0
	s_mul_u64 s[4:5], s[4:5], 24
	s_wait_loadcnt 0x0
	v_add_nc_u64_e32 v[0:1], s[4:5], v[8:9]
	global_store_b64 v[0:1], v[16:17], off
	global_wb scope:SCOPE_SYS
	s_wait_storecnt 0x0
	s_wait_xcnt 0x0
	global_atomic_cmpswap_b64 v[10:11], v5, v[14:17], s[2:3] offset:24 th:TH_ATOMIC_RETURN scope:SCOPE_SYS
	s_wait_loadcnt 0x0
	v_cmp_ne_u64_e32 vcc_lo, v[10:11], v[16:17]
	s_and_b32 exec_lo, exec_lo, vcc_lo
	s_cbranch_execz .LBB10_26
; %bb.24:
	s_mov_b32 s4, 0
.LBB10_25:                              ; =>This Inner Loop Header: Depth=1
	v_dual_mov_b32 v8, s0 :: v_dual_mov_b32 v9, s1
	s_sleep 1
	global_store_b64 v[0:1], v[10:11], off
	global_wb scope:SCOPE_SYS
	s_wait_storecnt 0x0
	s_wait_xcnt 0x0
	global_atomic_cmpswap_b64 v[8:9], v5, v[8:11], s[2:3] offset:24 th:TH_ATOMIC_RETURN scope:SCOPE_SYS
	s_wait_loadcnt 0x0
	v_cmp_eq_u64_e32 vcc_lo, v[8:9], v[10:11]
	v_mov_b64_e32 v[10:11], v[8:9]
	s_or_b32 s4, vcc_lo, s4
	s_delay_alu instid0(SALU_CYCLE_1)
	s_and_not1_b32 exec_lo, exec_lo, s4
	s_cbranch_execnz .LBB10_25
.LBB10_26:
	s_or_b32 exec_lo, exec_lo, s6
	s_mov_b32 s1, s33
	s_mov_b32 s0, 0
.LBB10_27:                              ; =>This Inner Loop Header: Depth=1
	scratch_load_u8 v0, off, s1
	s_wait_xcnt 0x0
	s_add_co_i32 s1, s1, 1
	s_wait_loadcnt 0x0
	v_cmp_eq_u16_e32 vcc_lo, 0, v0
	v_mov_b32_e32 v0, s1
	s_or_b32 s0, vcc_lo, s0
	s_delay_alu instid0(SALU_CYCLE_1)
	s_and_not1_b32 exec_lo, exec_lo, s0
	s_cbranch_execnz .LBB10_27
; %bb.28:
	s_or_b32 exec_lo, exec_lo, s0
	s_cmp_lg_u32 s33, -1
	s_cbranch_scc0 .LBB10_113
; %bb.29:
	s_mov_b64 s[0:1], src_flat_scratch_base_lo
	v_mov_b64_e32 v[16:17], 0x100000002
	v_dual_add_nc_u32 v1, s0, v0 :: v_dual_mov_b32 v35, 0
	s_add_co_i32 s0, s33, s0
	v_dual_mov_b32 v9, v13 :: v_dual_bitop2_b32 v0, 2, v12 bitop3:0x40
	s_delay_alu instid0(VALU_DEP_2) | instskip(SKIP_3) | instid1(VALU_DEP_2)
	v_subrev_nc_u32_e32 v38, s0, v1
	v_dual_mov_b32 v1, s33 :: v_dual_bitop2_b32 v8, -3, v12 bitop3:0x40
	s_mov_b32 s7, 0
	s_mov_b32 s6, 0
	v_ashrrev_i32_e32 v39, 31, v38
	s_branch .LBB10_31
.LBB10_30:                              ;   in Loop: Header=BB10_31 Depth=1
	s_or_b32 exec_lo, exec_lo, s10
	v_sub_nc_u64_e32 v[38:39], v[38:39], v[48:49]
	v_add_nc_u32_e32 v1, v1, v48
	s_delay_alu instid0(VALU_DEP_2) | instskip(SKIP_1) | instid1(SALU_CYCLE_1)
	v_cmp_eq_u64_e32 vcc_lo, 0, v[38:39]
	s_or_b32 s6, vcc_lo, s6
	s_and_not1_b32 exec_lo, exec_lo, s6
	s_cbranch_execz .LBB10_114
.LBB10_31:                              ; =>This Loop Header: Depth=1
                                        ;     Child Loop BB10_34 Depth 2
                                        ;     Child Loop BB10_42 Depth 2
	;; [unrolled: 1-line block ×11, first 2 shown]
	s_delay_alu instid0(VALU_DEP_1)
	v_min_u64 v[48:49], v[38:39], 56
	v_add_nc_u32_e32 v14, 8, v1
	s_mov_b32 s0, exec_lo
	v_cmpx_gt_u64_e32 8, v[38:39]
	s_xor_b32 s4, exec_lo, s0
	s_cbranch_execz .LBB10_37
; %bb.32:                               ;   in Loop: Header=BB10_31 Depth=1
	v_mov_b64_e32 v[10:11], 0
	s_mov_b32 s5, exec_lo
	v_cmpx_ne_u64_e32 0, v[38:39]
	s_cbranch_execz .LBB10_36
; %bb.33:                               ;   in Loop: Header=BB10_31 Depth=1
	v_mov_b64_e32 v[10:11], 0
	v_dual_mov_b32 v5, v1 :: v_dual_lshlrev_b32 v14, 3, v48
	s_mov_b64 s[0:1], 0
	s_mov_b32 s10, 0
.LBB10_34:                              ;   Parent Loop BB10_31 Depth=1
                                        ; =>  This Inner Loop Header: Depth=2
	scratch_load_u8 v15, v5, off
	s_wait_xcnt 0x0
	v_dual_mov_b32 v19, s7 :: v_dual_add_nc_u32 v5, 1, v5
	s_wait_loadcnt 0x0
	v_and_b32_e32 v18, 0xffff, v15
	s_delay_alu instid0(VALU_DEP_1) | instskip(SKIP_1) | instid1(SALU_CYCLE_1)
	v_lshlrev_b64_e32 v[18:19], s0, v[18:19]
	s_add_nc_u64 s[0:1], s[0:1], 8
	v_cmp_eq_u32_e32 vcc_lo, s0, v14
	s_delay_alu instid0(VALU_DEP_2) | instskip(NEXT) | instid1(VALU_DEP_3)
	v_or_b32_e32 v11, v19, v11
	v_or_b32_e32 v10, v18, v10
	s_or_b32 s10, vcc_lo, s10
	s_delay_alu instid0(SALU_CYCLE_1)
	s_and_not1_b32 exec_lo, exec_lo, s10
	s_cbranch_execnz .LBB10_34
; %bb.35:                               ;   in Loop: Header=BB10_31 Depth=1
	s_or_b32 exec_lo, exec_lo, s10
.LBB10_36:                              ;   in Loop: Header=BB10_31 Depth=1
	s_delay_alu instid0(SALU_CYCLE_1)
	s_or_b32 exec_lo, exec_lo, s5
	v_mov_b32_e32 v14, v1
.LBB10_37:                              ;   in Loop: Header=BB10_31 Depth=1
	s_or_saveexec_b32 s0, s4
	v_mov_b32_e32 v15, 0
	s_xor_b32 exec_lo, exec_lo, s0
	s_cbranch_execz .LBB10_39
; %bb.38:                               ;   in Loop: Header=BB10_31 Depth=1
	scratch_load_b64 v[10:11], v1, off
	v_add_nc_u32_e32 v15, -8, v48
.LBB10_39:                              ;   in Loop: Header=BB10_31 Depth=1
	s_wait_xcnt 0x0
	s_or_b32 exec_lo, exec_lo, s0
	v_add_nc_u32_e32 v5, 8, v14
                                        ; implicit-def: $vgpr18_vgpr19
	s_mov_b32 s0, exec_lo
	v_cmpx_gt_u32_e32 8, v15
	s_xor_b32 s4, exec_lo, s0
	s_cbranch_execz .LBB10_45
; %bb.40:                               ;   in Loop: Header=BB10_31 Depth=1
	v_mov_b64_e32 v[18:19], 0
	s_mov_b32 s5, exec_lo
	v_cmpx_ne_u32_e32 0, v15
	s_cbranch_execz .LBB10_44
; %bb.41:                               ;   in Loop: Header=BB10_31 Depth=1
	v_mov_b64_e32 v[18:19], 0
	s_mov_b64 s[0:1], 0
	s_mov_b32 s10, 0
	s_mov_b32 s11, 0
.LBB10_42:                              ;   Parent Loop BB10_31 Depth=1
                                        ; =>  This Inner Loop Header: Depth=2
	scratch_load_u8 v5, v14, s11
	v_mov_b32_e32 v21, s7
	s_wait_xcnt 0x0
	s_add_co_i32 s11, s11, 1
	s_delay_alu instid0(SALU_CYCLE_1) | instskip(SKIP_3) | instid1(VALU_DEP_1)
	v_cmp_eq_u32_e32 vcc_lo, s11, v15
	s_or_b32 s10, vcc_lo, s10
	s_wait_loadcnt 0x0
	v_and_b32_e32 v20, 0xffff, v5
	v_lshlrev_b64_e32 v[20:21], s0, v[20:21]
	s_add_nc_u64 s[0:1], s[0:1], 8
	s_delay_alu instid0(VALU_DEP_1) | instskip(NEXT) | instid1(VALU_DEP_2)
	v_or_b32_e32 v19, v21, v19
	v_or_b32_e32 v18, v20, v18
	s_and_not1_b32 exec_lo, exec_lo, s10
	s_cbranch_execnz .LBB10_42
; %bb.43:                               ;   in Loop: Header=BB10_31 Depth=1
	s_or_b32 exec_lo, exec_lo, s10
.LBB10_44:                              ;   in Loop: Header=BB10_31 Depth=1
	s_delay_alu instid0(SALU_CYCLE_1)
	s_or_b32 exec_lo, exec_lo, s5
	v_mov_b32_e32 v5, v14
                                        ; implicit-def: $vgpr15
.LBB10_45:                              ;   in Loop: Header=BB10_31 Depth=1
	s_or_saveexec_b32 s0, s4
	v_mov_b32_e32 v22, 0
	s_xor_b32 exec_lo, exec_lo, s0
	s_cbranch_execz .LBB10_47
; %bb.46:                               ;   in Loop: Header=BB10_31 Depth=1
	scratch_load_b64 v[18:19], v14, off
	v_add_nc_u32_e32 v22, -8, v15
.LBB10_47:                              ;   in Loop: Header=BB10_31 Depth=1
	s_wait_xcnt 0x0
	s_or_b32 exec_lo, exec_lo, s0
	v_add_nc_u32_e32 v14, 8, v5
	s_mov_b32 s0, exec_lo
	v_cmpx_gt_u32_e32 8, v22
	s_xor_b32 s4, exec_lo, s0
	s_cbranch_execz .LBB10_53
; %bb.48:                               ;   in Loop: Header=BB10_31 Depth=1
	v_mov_b64_e32 v[20:21], 0
	s_mov_b32 s5, exec_lo
	v_cmpx_ne_u32_e32 0, v22
	s_cbranch_execz .LBB10_52
; %bb.49:                               ;   in Loop: Header=BB10_31 Depth=1
	v_mov_b64_e32 v[20:21], 0
	s_mov_b64 s[0:1], 0
	s_mov_b32 s10, 0
	s_mov_b32 s11, 0
.LBB10_50:                              ;   Parent Loop BB10_31 Depth=1
                                        ; =>  This Inner Loop Header: Depth=2
	scratch_load_u8 v14, v5, s11
	v_mov_b32_e32 v15, s7
	s_wait_xcnt 0x0
	s_add_co_i32 s11, s11, 1
	s_delay_alu instid0(SALU_CYCLE_1) | instskip(SKIP_3) | instid1(VALU_DEP_1)
	v_cmp_eq_u32_e32 vcc_lo, s11, v22
	s_or_b32 s10, vcc_lo, s10
	s_wait_loadcnt 0x0
	v_and_b32_e32 v14, 0xffff, v14
	v_lshlrev_b64_e32 v[14:15], s0, v[14:15]
	s_add_nc_u64 s[0:1], s[0:1], 8
	s_delay_alu instid0(VALU_DEP_1) | instskip(NEXT) | instid1(VALU_DEP_2)
	v_or_b32_e32 v21, v15, v21
	v_or_b32_e32 v20, v14, v20
	s_and_not1_b32 exec_lo, exec_lo, s10
	s_cbranch_execnz .LBB10_50
; %bb.51:                               ;   in Loop: Header=BB10_31 Depth=1
	s_or_b32 exec_lo, exec_lo, s10
.LBB10_52:                              ;   in Loop: Header=BB10_31 Depth=1
	s_delay_alu instid0(SALU_CYCLE_1)
	s_or_b32 exec_lo, exec_lo, s5
	v_mov_b32_e32 v14, v5
                                        ; implicit-def: $vgpr22
.LBB10_53:                              ;   in Loop: Header=BB10_31 Depth=1
	s_or_saveexec_b32 s0, s4
	v_mov_b32_e32 v15, 0
	s_xor_b32 exec_lo, exec_lo, s0
	s_cbranch_execz .LBB10_55
; %bb.54:                               ;   in Loop: Header=BB10_31 Depth=1
	scratch_load_b64 v[20:21], v5, off
	v_add_nc_u32_e32 v15, -8, v22
.LBB10_55:                              ;   in Loop: Header=BB10_31 Depth=1
	s_wait_xcnt 0x0
	s_or_b32 exec_lo, exec_lo, s0
	v_add_nc_u32_e32 v5, 8, v14
                                        ; implicit-def: $vgpr22_vgpr23
	s_mov_b32 s0, exec_lo
	v_cmpx_gt_u32_e32 8, v15
	s_xor_b32 s4, exec_lo, s0
	s_cbranch_execz .LBB10_61
; %bb.56:                               ;   in Loop: Header=BB10_31 Depth=1
	v_mov_b64_e32 v[22:23], 0
	s_mov_b32 s5, exec_lo
	v_cmpx_ne_u32_e32 0, v15
	s_cbranch_execz .LBB10_60
; %bb.57:                               ;   in Loop: Header=BB10_31 Depth=1
	v_mov_b64_e32 v[22:23], 0
	s_mov_b64 s[0:1], 0
	s_mov_b32 s10, 0
	s_mov_b32 s11, 0
.LBB10_58:                              ;   Parent Loop BB10_31 Depth=1
                                        ; =>  This Inner Loop Header: Depth=2
	scratch_load_u8 v5, v14, s11
	v_mov_b32_e32 v25, s7
	s_wait_xcnt 0x0
	s_add_co_i32 s11, s11, 1
	s_delay_alu instid0(SALU_CYCLE_1) | instskip(SKIP_3) | instid1(VALU_DEP_1)
	v_cmp_eq_u32_e32 vcc_lo, s11, v15
	s_or_b32 s10, vcc_lo, s10
	s_wait_loadcnt 0x0
	v_and_b32_e32 v24, 0xffff, v5
	v_lshlrev_b64_e32 v[24:25], s0, v[24:25]
	s_add_nc_u64 s[0:1], s[0:1], 8
	s_delay_alu instid0(VALU_DEP_1) | instskip(NEXT) | instid1(VALU_DEP_2)
	v_or_b32_e32 v23, v25, v23
	v_or_b32_e32 v22, v24, v22
	s_and_not1_b32 exec_lo, exec_lo, s10
	s_cbranch_execnz .LBB10_58
; %bb.59:                               ;   in Loop: Header=BB10_31 Depth=1
	s_or_b32 exec_lo, exec_lo, s10
.LBB10_60:                              ;   in Loop: Header=BB10_31 Depth=1
	s_delay_alu instid0(SALU_CYCLE_1)
	s_or_b32 exec_lo, exec_lo, s5
	v_mov_b32_e32 v5, v14
                                        ; implicit-def: $vgpr15
.LBB10_61:                              ;   in Loop: Header=BB10_31 Depth=1
	s_or_saveexec_b32 s0, s4
	v_mov_b32_e32 v26, 0
	s_xor_b32 exec_lo, exec_lo, s0
	s_cbranch_execz .LBB10_63
; %bb.62:                               ;   in Loop: Header=BB10_31 Depth=1
	scratch_load_b64 v[22:23], v14, off
	v_add_nc_u32_e32 v26, -8, v15
.LBB10_63:                              ;   in Loop: Header=BB10_31 Depth=1
	s_wait_xcnt 0x0
	s_or_b32 exec_lo, exec_lo, s0
	v_add_nc_u32_e32 v14, 8, v5
	s_mov_b32 s0, exec_lo
	v_cmpx_gt_u32_e32 8, v26
	s_xor_b32 s4, exec_lo, s0
	s_cbranch_execz .LBB10_69
; %bb.64:                               ;   in Loop: Header=BB10_31 Depth=1
	v_mov_b64_e32 v[24:25], 0
	s_mov_b32 s5, exec_lo
	v_cmpx_ne_u32_e32 0, v26
	s_cbranch_execz .LBB10_68
; %bb.65:                               ;   in Loop: Header=BB10_31 Depth=1
	v_mov_b64_e32 v[24:25], 0
	s_mov_b64 s[0:1], 0
	s_mov_b32 s10, 0
	s_mov_b32 s11, 0
.LBB10_66:                              ;   Parent Loop BB10_31 Depth=1
                                        ; =>  This Inner Loop Header: Depth=2
	scratch_load_u8 v14, v5, s11
	v_mov_b32_e32 v15, s7
	s_wait_xcnt 0x0
	s_add_co_i32 s11, s11, 1
	s_delay_alu instid0(SALU_CYCLE_1) | instskip(SKIP_3) | instid1(VALU_DEP_1)
	v_cmp_eq_u32_e32 vcc_lo, s11, v26
	s_or_b32 s10, vcc_lo, s10
	s_wait_loadcnt 0x0
	v_and_b32_e32 v14, 0xffff, v14
	v_lshlrev_b64_e32 v[14:15], s0, v[14:15]
	s_add_nc_u64 s[0:1], s[0:1], 8
	s_delay_alu instid0(VALU_DEP_1) | instskip(NEXT) | instid1(VALU_DEP_2)
	v_or_b32_e32 v25, v15, v25
	v_or_b32_e32 v24, v14, v24
	s_and_not1_b32 exec_lo, exec_lo, s10
	s_cbranch_execnz .LBB10_66
; %bb.67:                               ;   in Loop: Header=BB10_31 Depth=1
	s_or_b32 exec_lo, exec_lo, s10
.LBB10_68:                              ;   in Loop: Header=BB10_31 Depth=1
	s_delay_alu instid0(SALU_CYCLE_1)
	s_or_b32 exec_lo, exec_lo, s5
	v_mov_b32_e32 v14, v5
                                        ; implicit-def: $vgpr26
.LBB10_69:                              ;   in Loop: Header=BB10_31 Depth=1
	s_or_saveexec_b32 s0, s4
	v_mov_b32_e32 v15, 0
	s_xor_b32 exec_lo, exec_lo, s0
	s_cbranch_execz .LBB10_71
; %bb.70:                               ;   in Loop: Header=BB10_31 Depth=1
	scratch_load_b64 v[24:25], v5, off
	v_add_nc_u32_e32 v15, -8, v26
.LBB10_71:                              ;   in Loop: Header=BB10_31 Depth=1
	s_wait_xcnt 0x0
	s_or_b32 exec_lo, exec_lo, s0
	v_add_nc_u32_e32 v5, 8, v14
                                        ; implicit-def: $vgpr26_vgpr27
	s_mov_b32 s0, exec_lo
	v_cmpx_gt_u32_e32 8, v15
	s_xor_b32 s4, exec_lo, s0
	s_cbranch_execz .LBB10_77
; %bb.72:                               ;   in Loop: Header=BB10_31 Depth=1
	v_mov_b64_e32 v[26:27], 0
	s_mov_b32 s5, exec_lo
	v_cmpx_ne_u32_e32 0, v15
	s_cbranch_execz .LBB10_76
; %bb.73:                               ;   in Loop: Header=BB10_31 Depth=1
	v_mov_b64_e32 v[26:27], 0
	s_mov_b64 s[0:1], 0
	s_mov_b32 s10, 0
	s_mov_b32 s11, 0
.LBB10_74:                              ;   Parent Loop BB10_31 Depth=1
                                        ; =>  This Inner Loop Header: Depth=2
	scratch_load_u8 v5, v14, s11
	v_mov_b32_e32 v29, s7
	s_wait_xcnt 0x0
	s_add_co_i32 s11, s11, 1
	s_delay_alu instid0(SALU_CYCLE_1) | instskip(SKIP_3) | instid1(VALU_DEP_1)
	v_cmp_eq_u32_e32 vcc_lo, s11, v15
	s_or_b32 s10, vcc_lo, s10
	s_wait_loadcnt 0x0
	v_and_b32_e32 v28, 0xffff, v5
	v_lshlrev_b64_e32 v[28:29], s0, v[28:29]
	s_add_nc_u64 s[0:1], s[0:1], 8
	s_delay_alu instid0(VALU_DEP_1) | instskip(NEXT) | instid1(VALU_DEP_2)
	v_or_b32_e32 v27, v29, v27
	v_or_b32_e32 v26, v28, v26
	s_and_not1_b32 exec_lo, exec_lo, s10
	s_cbranch_execnz .LBB10_74
; %bb.75:                               ;   in Loop: Header=BB10_31 Depth=1
	s_or_b32 exec_lo, exec_lo, s10
.LBB10_76:                              ;   in Loop: Header=BB10_31 Depth=1
	s_delay_alu instid0(SALU_CYCLE_1)
	s_or_b32 exec_lo, exec_lo, s5
	v_mov_b32_e32 v5, v14
                                        ; implicit-def: $vgpr15
.LBB10_77:                              ;   in Loop: Header=BB10_31 Depth=1
	s_or_saveexec_b32 s0, s4
	v_mov_b32_e32 v30, 0
	s_xor_b32 exec_lo, exec_lo, s0
	s_cbranch_execz .LBB10_79
; %bb.78:                               ;   in Loop: Header=BB10_31 Depth=1
	scratch_load_b64 v[26:27], v14, off
	v_add_nc_u32_e32 v30, -8, v15
.LBB10_79:                              ;   in Loop: Header=BB10_31 Depth=1
	s_wait_xcnt 0x0
	s_or_b32 exec_lo, exec_lo, s0
	s_delay_alu instid0(SALU_CYCLE_1) | instskip(NEXT) | instid1(VALU_DEP_1)
	s_mov_b32 s0, exec_lo
	v_cmpx_gt_u32_e32 8, v30
	s_xor_b32 s4, exec_lo, s0
	s_cbranch_execz .LBB10_85
; %bb.80:                               ;   in Loop: Header=BB10_31 Depth=1
	v_mov_b64_e32 v[28:29], 0
	s_mov_b32 s5, exec_lo
	v_cmpx_ne_u32_e32 0, v30
	s_cbranch_execz .LBB10_84
; %bb.81:                               ;   in Loop: Header=BB10_31 Depth=1
	v_mov_b64_e32 v[28:29], 0
	s_mov_b64 s[0:1], 0
	s_mov_b32 s10, 0
.LBB10_82:                              ;   Parent Loop BB10_31 Depth=1
                                        ; =>  This Inner Loop Header: Depth=2
	scratch_load_u8 v14, v5, off
	v_dual_mov_b32 v15, s7 :: v_dual_add_nc_u32 v30, -1, v30
	s_delay_alu instid0(VALU_DEP_1) | instskip(SKIP_3) | instid1(VALU_DEP_1)
	v_cmp_eq_u32_e32 vcc_lo, 0, v30
	s_or_b32 s10, vcc_lo, s10
	s_wait_loadcnt 0x0
	v_and_b32_e32 v14, 0xffff, v14
	v_lshlrev_b64_e32 v[14:15], s0, v[14:15]
	s_wait_xcnt 0x0
	v_add_nc_u32_e32 v5, 1, v5
	s_add_nc_u64 s[0:1], s[0:1], 8
	s_delay_alu instid0(VALU_DEP_2) | instskip(NEXT) | instid1(VALU_DEP_3)
	v_or_b32_e32 v29, v15, v29
	v_or_b32_e32 v28, v14, v28
	s_and_not1_b32 exec_lo, exec_lo, s10
	s_cbranch_execnz .LBB10_82
; %bb.83:                               ;   in Loop: Header=BB10_31 Depth=1
	s_or_b32 exec_lo, exec_lo, s10
.LBB10_84:                              ;   in Loop: Header=BB10_31 Depth=1
	s_delay_alu instid0(SALU_CYCLE_1)
	s_or_b32 exec_lo, exec_lo, s5
                                        ; implicit-def: $vgpr5
.LBB10_85:                              ;   in Loop: Header=BB10_31 Depth=1
	s_and_not1_saveexec_b32 s0, s4
	s_cbranch_execz .LBB10_87
; %bb.86:                               ;   in Loop: Header=BB10_31 Depth=1
	scratch_load_b64 v[28:29], v5, off
.LBB10_87:                              ;   in Loop: Header=BB10_31 Depth=1
	s_wait_xcnt 0x0
	s_or_b32 exec_lo, exec_lo, s0
	v_readfirstlane_b32 s0, v54
	v_mov_b64_e32 v[14:15], 0
	s_delay_alu instid0(VALU_DEP_2)
	v_cmp_eq_u32_e64 s0, s0, v54
	s_and_saveexec_b32 s1, s0
	s_cbranch_execz .LBB10_93
; %bb.88:                               ;   in Loop: Header=BB10_31 Depth=1
	global_load_b64 v[32:33], v35, s[2:3] offset:24 scope:SCOPE_SYS
	s_wait_loadcnt 0x0
	global_inv scope:SCOPE_SYS
	s_clause 0x1
	global_load_b64 v[14:15], v35, s[2:3] offset:40
	global_load_b64 v[30:31], v35, s[2:3]
	s_mov_b32 s4, exec_lo
	s_wait_loadcnt 0x1
	v_and_b32_e32 v14, v14, v32
	v_and_b32_e32 v15, v15, v33
	s_delay_alu instid0(VALU_DEP_1) | instskip(SKIP_1) | instid1(VALU_DEP_1)
	v_mul_u64_e32 v[14:15], 24, v[14:15]
	s_wait_loadcnt 0x0
	v_add_nc_u64_e32 v[14:15], v[30:31], v[14:15]
	global_load_b64 v[30:31], v[14:15], off scope:SCOPE_SYS
	s_wait_xcnt 0x0
	s_wait_loadcnt 0x0
	global_atomic_cmpswap_b64 v[14:15], v35, v[30:33], s[2:3] offset:24 th:TH_ATOMIC_RETURN scope:SCOPE_SYS
	s_wait_loadcnt 0x0
	global_inv scope:SCOPE_SYS
	s_wait_xcnt 0x0
	v_cmpx_ne_u64_e64 v[14:15], v[32:33]
	s_cbranch_execz .LBB10_92
; %bb.89:                               ;   in Loop: Header=BB10_31 Depth=1
	s_mov_b32 s5, 0
.LBB10_90:                              ;   Parent Loop BB10_31 Depth=1
                                        ; =>  This Inner Loop Header: Depth=2
	s_sleep 1
	s_clause 0x1
	global_load_b64 v[30:31], v35, s[2:3] offset:40
	global_load_b64 v[50:51], v35, s[2:3]
	v_mov_b64_e32 v[32:33], v[14:15]
	s_wait_loadcnt 0x1
	s_delay_alu instid0(VALU_DEP_1) | instskip(SKIP_1) | instid1(VALU_DEP_1)
	v_and_b32_e32 v5, v30, v32
	s_wait_loadcnt 0x0
	v_mad_nc_u64_u32 v[14:15], v5, 24, v[50:51]
	s_delay_alu instid0(VALU_DEP_3) | instskip(NEXT) | instid1(VALU_DEP_1)
	v_and_b32_e32 v5, v31, v33
	v_mad_u32 v15, v5, 24, v15
	global_load_b64 v[30:31], v[14:15], off scope:SCOPE_SYS
	s_wait_xcnt 0x0
	s_wait_loadcnt 0x0
	global_atomic_cmpswap_b64 v[14:15], v35, v[30:33], s[2:3] offset:24 th:TH_ATOMIC_RETURN scope:SCOPE_SYS
	s_wait_loadcnt 0x0
	global_inv scope:SCOPE_SYS
	v_cmp_eq_u64_e32 vcc_lo, v[14:15], v[32:33]
	s_or_b32 s5, vcc_lo, s5
	s_wait_xcnt 0x0
	s_and_not1_b32 exec_lo, exec_lo, s5
	s_cbranch_execnz .LBB10_90
; %bb.91:                               ;   in Loop: Header=BB10_31 Depth=1
	s_or_b32 exec_lo, exec_lo, s5
.LBB10_92:                              ;   in Loop: Header=BB10_31 Depth=1
	s_delay_alu instid0(SALU_CYCLE_1)
	s_or_b32 exec_lo, exec_lo, s4
.LBB10_93:                              ;   in Loop: Header=BB10_31 Depth=1
	s_delay_alu instid0(SALU_CYCLE_1)
	s_or_b32 exec_lo, exec_lo, s1
	s_clause 0x1
	global_load_b64 v[50:51], v35, s[2:3] offset:40
	global_load_b128 v[30:33], v35, s[2:3]
	v_readfirstlane_b32 s4, v14
	v_readfirstlane_b32 s5, v15
	s_mov_b32 s1, exec_lo
	s_wait_loadcnt 0x1
	v_and_b32_e32 v52, s4, v50
	v_and_b32_e32 v53, s5, v51
	s_delay_alu instid0(VALU_DEP_1) | instskip(SKIP_1) | instid1(VALU_DEP_1)
	v_mul_u64_e32 v[14:15], 24, v[52:53]
	s_wait_loadcnt 0x0
	v_add_nc_u64_e32 v[50:51], v[30:31], v[14:15]
	s_wait_xcnt 0x0
	s_and_saveexec_b32 s10, s0
	s_cbranch_execz .LBB10_95
; %bb.94:                               ;   in Loop: Header=BB10_31 Depth=1
	v_dual_mov_b32 v14, s1 :: v_dual_mov_b32 v15, v35
	global_store_b128 v[50:51], v[14:17], off offset:8
.LBB10_95:                              ;   in Loop: Header=BB10_31 Depth=1
	s_wait_xcnt 0x0
	s_or_b32 exec_lo, exec_lo, s10
	v_cmp_gt_u64_e32 vcc_lo, 57, v[38:39]
	v_lshlrev_b64_e32 v[14:15], 12, v[52:53]
	v_and_b32_e32 v8, 0xffffff1f, v8
	v_lshl_add_u32 v52, v48, 2, 28
	v_cndmask_b32_e32 v5, 0, v0, vcc_lo
	s_delay_alu instid0(VALU_DEP_4) | instskip(NEXT) | instid1(VALU_DEP_2)
	v_add_nc_u64_e32 v[14:15], v[32:33], v[14:15]
	v_or_b32_e32 v5, v8, v5
	s_delay_alu instid0(VALU_DEP_2) | instskip(NEXT) | instid1(VALU_DEP_3)
	v_readfirstlane_b32 s10, v14
	v_readfirstlane_b32 s11, v15
	s_delay_alu instid0(VALU_DEP_3)
	v_and_or_b32 v8, 0x1e0, v52, v5
	s_clause 0x3
	global_store_b128 v34, v[8:11], s[10:11]
	global_store_b128 v34, v[18:21], s[10:11] offset:16
	global_store_b128 v34, v[22:25], s[10:11] offset:32
	global_store_b128 v34, v[26:29], s[10:11] offset:48
	s_wait_xcnt 0x0
	s_and_saveexec_b32 s1, s0
	s_cbranch_execz .LBB10_103
; %bb.96:                               ;   in Loop: Header=BB10_31 Depth=1
	s_clause 0x1
	global_load_b64 v[22:23], v35, s[2:3] offset:32 scope:SCOPE_SYS
	global_load_b64 v[8:9], v35, s[2:3] offset:40
	s_mov_b32 s10, exec_lo
	v_dual_mov_b32 v20, s4 :: v_dual_mov_b32 v21, s5
	s_wait_loadcnt 0x0
	v_and_b32_e32 v9, s5, v9
	v_and_b32_e32 v8, s4, v8
	s_delay_alu instid0(VALU_DEP_1) | instskip(NEXT) | instid1(VALU_DEP_1)
	v_mul_u64_e32 v[8:9], 24, v[8:9]
	v_add_nc_u64_e32 v[18:19], v[30:31], v[8:9]
	global_store_b64 v[18:19], v[22:23], off
	global_wb scope:SCOPE_SYS
	s_wait_storecnt 0x0
	s_wait_xcnt 0x0
	global_atomic_cmpswap_b64 v[10:11], v35, v[20:23], s[2:3] offset:32 th:TH_ATOMIC_RETURN scope:SCOPE_SYS
	s_wait_loadcnt 0x0
	v_cmpx_ne_u64_e64 v[10:11], v[22:23]
	s_cbranch_execz .LBB10_99
; %bb.97:                               ;   in Loop: Header=BB10_31 Depth=1
	s_mov_b32 s11, 0
.LBB10_98:                              ;   Parent Loop BB10_31 Depth=1
                                        ; =>  This Inner Loop Header: Depth=2
	v_dual_mov_b32 v8, s4 :: v_dual_mov_b32 v9, s5
	s_sleep 1
	global_store_b64 v[18:19], v[10:11], off
	global_wb scope:SCOPE_SYS
	s_wait_storecnt 0x0
	s_wait_xcnt 0x0
	global_atomic_cmpswap_b64 v[8:9], v35, v[8:11], s[2:3] offset:32 th:TH_ATOMIC_RETURN scope:SCOPE_SYS
	s_wait_loadcnt 0x0
	v_cmp_eq_u64_e32 vcc_lo, v[8:9], v[10:11]
	v_mov_b64_e32 v[10:11], v[8:9]
	s_or_b32 s11, vcc_lo, s11
	s_delay_alu instid0(SALU_CYCLE_1)
	s_and_not1_b32 exec_lo, exec_lo, s11
	s_cbranch_execnz .LBB10_98
.LBB10_99:                              ;   in Loop: Header=BB10_31 Depth=1
	s_or_b32 exec_lo, exec_lo, s10
	global_load_b64 v[8:9], v35, s[2:3] offset:16
	s_mov_b32 s11, exec_lo
	s_mov_b32 s10, exec_lo
	v_mbcnt_lo_u32_b32 v5, s11, 0
	s_wait_xcnt 0x0
	s_delay_alu instid0(VALU_DEP_1)
	v_cmpx_eq_u32_e32 0, v5
	s_cbranch_execz .LBB10_101
; %bb.100:                              ;   in Loop: Header=BB10_31 Depth=1
	s_bcnt1_i32_b32 s11, s11
	s_delay_alu instid0(SALU_CYCLE_1)
	v_dual_mov_b32 v11, v35 :: v_dual_mov_b32 v10, s11
	global_wb scope:SCOPE_SYS
	s_wait_loadcnt 0x0
	s_wait_storecnt 0x0
	global_atomic_add_u64 v[8:9], v[10:11], off offset:8 scope:SCOPE_SYS
.LBB10_101:                             ;   in Loop: Header=BB10_31 Depth=1
	s_wait_xcnt 0x0
	s_or_b32 exec_lo, exec_lo, s10
	s_wait_loadcnt 0x0
	global_load_b64 v[10:11], v[8:9], off offset:16
	s_wait_loadcnt 0x0
	v_cmp_eq_u64_e32 vcc_lo, 0, v[10:11]
	s_cbranch_vccnz .LBB10_103
; %bb.102:                              ;   in Loop: Header=BB10_31 Depth=1
	global_load_b32 v8, v[8:9], off offset:24
	s_wait_xcnt 0x0
	v_mov_b32_e32 v9, v35
	s_wait_loadcnt 0x0
	v_readfirstlane_b32 s10, v8
	global_wb scope:SCOPE_SYS
	s_wait_storecnt 0x0
	global_store_b64 v[10:11], v[8:9], off scope:SCOPE_SYS
	s_and_b32 m0, s10, 0xffffff
	s_sendmsg sendmsg(MSG_INTERRUPT)
.LBB10_103:                             ;   in Loop: Header=BB10_31 Depth=1
	s_wait_xcnt 0x0
	s_or_b32 exec_lo, exec_lo, s1
	v_add_nc_u64_e32 v[8:9], v[14:15], v[34:35]
	s_branch .LBB10_107
.LBB10_104:                             ;   in Loop: Header=BB10_107 Depth=2
	s_wait_xcnt 0x0
	s_or_b32 exec_lo, exec_lo, s1
	s_delay_alu instid0(VALU_DEP_1)
	v_readfirstlane_b32 s1, v5
	s_cmp_eq_u32 s1, 0
	s_cbranch_scc1 .LBB10_106
; %bb.105:                              ;   in Loop: Header=BB10_107 Depth=2
	s_sleep 1
	s_cbranch_execnz .LBB10_107
	s_branch .LBB10_109
.LBB10_106:                             ;   in Loop: Header=BB10_31 Depth=1
	s_branch .LBB10_109
.LBB10_107:                             ;   Parent Loop BB10_31 Depth=1
                                        ; =>  This Inner Loop Header: Depth=2
	v_mov_b32_e32 v5, 1
	s_and_saveexec_b32 s1, s0
	s_cbranch_execz .LBB10_104
; %bb.108:                              ;   in Loop: Header=BB10_107 Depth=2
	global_load_b32 v5, v[50:51], off offset:20 scope:SCOPE_SYS
	s_wait_loadcnt 0x0
	global_inv scope:SCOPE_SYS
	v_and_b32_e32 v5, 1, v5
	s_branch .LBB10_104
.LBB10_109:                             ;   in Loop: Header=BB10_31 Depth=1
	global_load_b64 v[8:9], v[8:9], off
	s_wait_xcnt 0x0
	s_and_saveexec_b32 s10, s0
	s_cbranch_execz .LBB10_30
; %bb.110:                              ;   in Loop: Header=BB10_31 Depth=1
	s_clause 0x2
	global_load_b64 v[10:11], v35, s[2:3] offset:40
	global_load_b64 v[22:23], v35, s[2:3] offset:24 scope:SCOPE_SYS
	global_load_b64 v[14:15], v35, s[2:3]
	s_wait_loadcnt 0x2
	v_readfirstlane_b32 s12, v10
	v_readfirstlane_b32 s13, v11
	s_add_nc_u64 s[0:1], s[12:13], 1
	s_delay_alu instid0(SALU_CYCLE_1) | instskip(NEXT) | instid1(SALU_CYCLE_1)
	s_add_nc_u64 s[4:5], s[0:1], s[4:5]
	s_cmp_eq_u64 s[4:5], 0
	s_cselect_b32 s1, s1, s5
	s_cselect_b32 s0, s0, s4
	s_delay_alu instid0(SALU_CYCLE_1) | instskip(SKIP_1) | instid1(SALU_CYCLE_1)
	v_dual_mov_b32 v21, s1 :: v_dual_mov_b32 v20, s0
	s_and_b64 s[4:5], s[0:1], s[12:13]
	s_mul_u64 s[4:5], s[4:5], 24
	s_wait_loadcnt 0x0
	v_add_nc_u64_e32 v[10:11], s[4:5], v[14:15]
	global_store_b64 v[10:11], v[22:23], off
	global_wb scope:SCOPE_SYS
	s_wait_storecnt 0x0
	s_wait_xcnt 0x0
	global_atomic_cmpswap_b64 v[20:21], v35, v[20:23], s[2:3] offset:24 th:TH_ATOMIC_RETURN scope:SCOPE_SYS
	s_wait_loadcnt 0x0
	v_cmp_ne_u64_e32 vcc_lo, v[20:21], v[22:23]
	s_and_b32 exec_lo, exec_lo, vcc_lo
	s_cbranch_execz .LBB10_30
; %bb.111:                              ;   in Loop: Header=BB10_31 Depth=1
	s_mov_b32 s4, 0
.LBB10_112:                             ;   Parent Loop BB10_31 Depth=1
                                        ; =>  This Inner Loop Header: Depth=2
	v_dual_mov_b32 v18, s0 :: v_dual_mov_b32 v19, s1
	s_sleep 1
	global_store_b64 v[10:11], v[20:21], off
	global_wb scope:SCOPE_SYS
	s_wait_storecnt 0x0
	s_wait_xcnt 0x0
	global_atomic_cmpswap_b64 v[14:15], v35, v[18:21], s[2:3] offset:24 th:TH_ATOMIC_RETURN scope:SCOPE_SYS
	s_wait_loadcnt 0x0
	v_cmp_eq_u64_e32 vcc_lo, v[14:15], v[20:21]
	v_mov_b64_e32 v[20:21], v[14:15]
	s_or_b32 s4, vcc_lo, s4
	s_delay_alu instid0(SALU_CYCLE_1)
	s_and_not1_b32 exec_lo, exec_lo, s4
	s_cbranch_execnz .LBB10_112
	s_branch .LBB10_30
.LBB10_113:
                                        ; implicit-def: $vgpr8_vgpr9
	s_cbranch_execnz .LBB10_115
	s_branch .LBB10_142
.LBB10_114:
	s_or_b32 exec_lo, exec_lo, s6
	s_branch .LBB10_142
.LBB10_115:
	v_readfirstlane_b32 s0, v54
	v_mov_b64_e32 v[0:1], 0
	s_delay_alu instid0(VALU_DEP_2)
	v_cmp_eq_u32_e64 s0, s0, v54
	s_and_saveexec_b32 s1, s0
	s_cbranch_execz .LBB10_121
; %bb.116:
	v_mov_b32_e32 v5, 0
	s_mov_b32 s4, exec_lo
	global_load_b64 v[10:11], v5, s[2:3] offset:24 scope:SCOPE_SYS
	s_wait_loadcnt 0x0
	global_inv scope:SCOPE_SYS
	s_clause 0x1
	global_load_b64 v[0:1], v5, s[2:3] offset:40
	global_load_b64 v[8:9], v5, s[2:3]
	s_wait_loadcnt 0x1
	v_and_b32_e32 v0, v0, v10
	v_and_b32_e32 v1, v1, v11
	s_delay_alu instid0(VALU_DEP_1) | instskip(SKIP_1) | instid1(VALU_DEP_1)
	v_mul_u64_e32 v[0:1], 24, v[0:1]
	s_wait_loadcnt 0x0
	v_add_nc_u64_e32 v[0:1], v[8:9], v[0:1]
	global_load_b64 v[8:9], v[0:1], off scope:SCOPE_SYS
	s_wait_xcnt 0x0
	s_wait_loadcnt 0x0
	global_atomic_cmpswap_b64 v[0:1], v5, v[8:11], s[2:3] offset:24 th:TH_ATOMIC_RETURN scope:SCOPE_SYS
	s_wait_loadcnt 0x0
	global_inv scope:SCOPE_SYS
	s_wait_xcnt 0x0
	v_cmpx_ne_u64_e64 v[0:1], v[10:11]
	s_cbranch_execz .LBB10_120
; %bb.117:
	s_mov_b32 s5, 0
.LBB10_118:                             ; =>This Inner Loop Header: Depth=1
	s_sleep 1
	s_clause 0x1
	global_load_b64 v[8:9], v5, s[2:3] offset:40
	global_load_b64 v[14:15], v5, s[2:3]
	v_mov_b64_e32 v[10:11], v[0:1]
	s_wait_loadcnt 0x1
	s_delay_alu instid0(VALU_DEP_1) | instskip(NEXT) | instid1(VALU_DEP_2)
	v_and_b32_e32 v0, v8, v10
	v_and_b32_e32 v8, v9, v11
	s_wait_loadcnt 0x0
	s_delay_alu instid0(VALU_DEP_2) | instskip(NEXT) | instid1(VALU_DEP_1)
	v_mad_nc_u64_u32 v[0:1], v0, 24, v[14:15]
	v_mad_u32 v1, v8, 24, v1
	global_load_b64 v[8:9], v[0:1], off scope:SCOPE_SYS
	s_wait_xcnt 0x0
	s_wait_loadcnt 0x0
	global_atomic_cmpswap_b64 v[0:1], v5, v[8:11], s[2:3] offset:24 th:TH_ATOMIC_RETURN scope:SCOPE_SYS
	s_wait_loadcnt 0x0
	global_inv scope:SCOPE_SYS
	v_cmp_eq_u64_e32 vcc_lo, v[0:1], v[10:11]
	s_or_b32 s5, vcc_lo, s5
	s_wait_xcnt 0x0
	s_and_not1_b32 exec_lo, exec_lo, s5
	s_cbranch_execnz .LBB10_118
; %bb.119:
	s_or_b32 exec_lo, exec_lo, s5
.LBB10_120:
	s_delay_alu instid0(SALU_CYCLE_1)
	s_or_b32 exec_lo, exec_lo, s4
.LBB10_121:
	s_delay_alu instid0(SALU_CYCLE_1)
	s_or_b32 exec_lo, exec_lo, s1
	v_readfirstlane_b32 s4, v0
	v_mov_b32_e32 v35, 0
	v_readfirstlane_b32 s5, v1
	s_mov_b32 s1, exec_lo
	global_load_b64 v[14:15], v35, s[2:3] offset:40
	s_wait_loadcnt 0x1
	global_load_b128 v[8:11], v35, s[2:3]
	s_wait_loadcnt 0x1
	v_and_b32_e32 v14, s4, v14
	v_and_b32_e32 v15, s5, v15
	s_delay_alu instid0(VALU_DEP_1) | instskip(SKIP_1) | instid1(VALU_DEP_1)
	v_mul_u64_e32 v[0:1], 24, v[14:15]
	s_wait_loadcnt 0x0
	v_add_nc_u64_e32 v[0:1], v[8:9], v[0:1]
	s_wait_xcnt 0x0
	s_and_saveexec_b32 s6, s0
	s_cbranch_execz .LBB10_123
; %bb.122:
	v_mov_b64_e32 v[18:19], 0x100000002
	v_dual_mov_b32 v16, s1 :: v_dual_mov_b32 v17, v35
	global_store_b128 v[0:1], v[16:19], off offset:8
.LBB10_123:
	s_wait_xcnt 0x0
	s_or_b32 exec_lo, exec_lo, s6
	v_lshlrev_b64_e32 v[14:15], 12, v[14:15]
	s_mov_b32 s12, 0
	v_and_or_b32 v12, 0xffffff1f, v12, 32
	s_mov_b32 s14, s12
	s_mov_b32 s15, s12
	;; [unrolled: 1-line block ×3, first 2 shown]
	v_mov_b64_e32 v[20:21], s[14:15]
	v_add_nc_u64_e32 v[16:17], v[10:11], v[14:15]
	v_mov_b64_e32 v[18:19], s[12:13]
	v_dual_mov_b32 v14, v35 :: v_dual_mov_b32 v15, v35
	s_delay_alu instid0(VALU_DEP_3) | instskip(NEXT) | instid1(VALU_DEP_4)
	v_readfirstlane_b32 s6, v16
	v_readfirstlane_b32 s7, v17
	s_clause 0x3
	global_store_b128 v34, v[12:15], s[6:7]
	global_store_b128 v34, v[18:21], s[6:7] offset:16
	global_store_b128 v34, v[18:21], s[6:7] offset:32
	;; [unrolled: 1-line block ×3, first 2 shown]
	s_wait_xcnt 0x0
	s_and_saveexec_b32 s1, s0
	s_cbranch_execz .LBB10_131
; %bb.124:
	v_dual_mov_b32 v5, 0 :: v_dual_mov_b32 v19, s5
	s_mov_b32 s6, exec_lo
	s_clause 0x1
	global_load_b64 v[20:21], v5, s[2:3] offset:32 scope:SCOPE_SYS
	global_load_b64 v[10:11], v5, s[2:3] offset:40
	s_wait_loadcnt 0x0
	v_dual_mov_b32 v18, s4 :: v_dual_bitop2_b32 v11, s5, v11 bitop3:0x40
	v_and_b32_e32 v10, s4, v10
	s_delay_alu instid0(VALU_DEP_1) | instskip(NEXT) | instid1(VALU_DEP_1)
	v_mul_u64_e32 v[10:11], 24, v[10:11]
	v_add_nc_u64_e32 v[12:13], v[8:9], v[10:11]
	global_store_b64 v[12:13], v[20:21], off
	global_wb scope:SCOPE_SYS
	s_wait_storecnt 0x0
	s_wait_xcnt 0x0
	global_atomic_cmpswap_b64 v[10:11], v5, v[18:21], s[2:3] offset:32 th:TH_ATOMIC_RETURN scope:SCOPE_SYS
	s_wait_loadcnt 0x0
	v_cmpx_ne_u64_e64 v[10:11], v[20:21]
	s_cbranch_execz .LBB10_127
; %bb.125:
	s_mov_b32 s7, 0
.LBB10_126:                             ; =>This Inner Loop Header: Depth=1
	v_dual_mov_b32 v8, s4 :: v_dual_mov_b32 v9, s5
	s_sleep 1
	global_store_b64 v[12:13], v[10:11], off
	global_wb scope:SCOPE_SYS
	s_wait_storecnt 0x0
	s_wait_xcnt 0x0
	global_atomic_cmpswap_b64 v[8:9], v5, v[8:11], s[2:3] offset:32 th:TH_ATOMIC_RETURN scope:SCOPE_SYS
	s_wait_loadcnt 0x0
	v_cmp_eq_u64_e32 vcc_lo, v[8:9], v[10:11]
	v_mov_b64_e32 v[10:11], v[8:9]
	s_or_b32 s7, vcc_lo, s7
	s_delay_alu instid0(SALU_CYCLE_1)
	s_and_not1_b32 exec_lo, exec_lo, s7
	s_cbranch_execnz .LBB10_126
.LBB10_127:
	s_or_b32 exec_lo, exec_lo, s6
	v_mov_b32_e32 v11, 0
	s_mov_b32 s7, exec_lo
	s_mov_b32 s6, exec_lo
	v_mbcnt_lo_u32_b32 v5, s7, 0
	global_load_b64 v[8:9], v11, s[2:3] offset:16
	s_wait_xcnt 0x0
	v_cmpx_eq_u32_e32 0, v5
	s_cbranch_execz .LBB10_129
; %bb.128:
	s_bcnt1_i32_b32 s7, s7
	s_delay_alu instid0(SALU_CYCLE_1)
	v_mov_b32_e32 v10, s7
	global_wb scope:SCOPE_SYS
	s_wait_loadcnt 0x0
	s_wait_storecnt 0x0
	global_atomic_add_u64 v[8:9], v[10:11], off offset:8 scope:SCOPE_SYS
.LBB10_129:
	s_wait_xcnt 0x0
	s_or_b32 exec_lo, exec_lo, s6
	s_wait_loadcnt 0x0
	global_load_b64 v[10:11], v[8:9], off offset:16
	s_wait_loadcnt 0x0
	v_cmp_eq_u64_e32 vcc_lo, 0, v[10:11]
	s_cbranch_vccnz .LBB10_131
; %bb.130:
	global_load_b32 v8, v[8:9], off offset:24
	s_wait_xcnt 0x0
	v_mov_b32_e32 v9, 0
	s_wait_loadcnt 0x0
	v_readfirstlane_b32 s6, v8
	global_wb scope:SCOPE_SYS
	s_wait_storecnt 0x0
	global_store_b64 v[10:11], v[8:9], off scope:SCOPE_SYS
	s_and_b32 m0, s6, 0xffffff
	s_sendmsg sendmsg(MSG_INTERRUPT)
.LBB10_131:
	s_wait_xcnt 0x0
	s_or_b32 exec_lo, exec_lo, s1
	v_add_nc_u64_e32 v[8:9], v[16:17], v[34:35]
	s_branch .LBB10_135
.LBB10_132:                             ;   in Loop: Header=BB10_135 Depth=1
	s_wait_xcnt 0x0
	s_or_b32 exec_lo, exec_lo, s1
	s_delay_alu instid0(VALU_DEP_1)
	v_readfirstlane_b32 s1, v5
	s_cmp_eq_u32 s1, 0
	s_cbranch_scc1 .LBB10_134
; %bb.133:                              ;   in Loop: Header=BB10_135 Depth=1
	s_sleep 1
	s_cbranch_execnz .LBB10_135
	s_branch .LBB10_137
.LBB10_134:
	s_branch .LBB10_137
.LBB10_135:                             ; =>This Inner Loop Header: Depth=1
	v_mov_b32_e32 v5, 1
	s_and_saveexec_b32 s1, s0
	s_cbranch_execz .LBB10_132
; %bb.136:                              ;   in Loop: Header=BB10_135 Depth=1
	global_load_b32 v5, v[0:1], off offset:20 scope:SCOPE_SYS
	s_wait_loadcnt 0x0
	global_inv scope:SCOPE_SYS
	v_and_b32_e32 v5, 1, v5
	s_branch .LBB10_132
.LBB10_137:
	global_load_b64 v[8:9], v[8:9], off
	s_wait_xcnt 0x0
	s_and_saveexec_b32 s6, s0
	s_cbranch_execz .LBB10_141
; %bb.138:
	v_mov_b32_e32 v5, 0
	s_clause 0x2
	global_load_b64 v[0:1], v5, s[2:3] offset:40
	global_load_b64 v[14:15], v5, s[2:3] offset:24 scope:SCOPE_SYS
	global_load_b64 v[10:11], v5, s[2:3]
	s_wait_loadcnt 0x2
	v_readfirstlane_b32 s10, v0
	v_readfirstlane_b32 s11, v1
	s_add_nc_u64 s[0:1], s[10:11], 1
	s_delay_alu instid0(SALU_CYCLE_1) | instskip(NEXT) | instid1(SALU_CYCLE_1)
	s_add_nc_u64 s[4:5], s[0:1], s[4:5]
	s_cmp_eq_u64 s[4:5], 0
	s_cselect_b32 s1, s1, s5
	s_cselect_b32 s0, s0, s4
	v_mov_b32_e32 v13, s1
	s_and_b64 s[4:5], s[0:1], s[10:11]
	v_mov_b32_e32 v12, s0
	s_mul_u64 s[4:5], s[4:5], 24
	s_wait_loadcnt 0x0
	v_add_nc_u64_e32 v[0:1], s[4:5], v[10:11]
	global_store_b64 v[0:1], v[14:15], off
	global_wb scope:SCOPE_SYS
	s_wait_storecnt 0x0
	s_wait_xcnt 0x0
	global_atomic_cmpswap_b64 v[12:13], v5, v[12:15], s[2:3] offset:24 th:TH_ATOMIC_RETURN scope:SCOPE_SYS
	s_wait_loadcnt 0x0
	v_cmp_ne_u64_e32 vcc_lo, v[12:13], v[14:15]
	s_and_b32 exec_lo, exec_lo, vcc_lo
	s_cbranch_execz .LBB10_141
; %bb.139:
	s_mov_b32 s4, 0
.LBB10_140:                             ; =>This Inner Loop Header: Depth=1
	v_dual_mov_b32 v10, s0 :: v_dual_mov_b32 v11, s1
	s_sleep 1
	global_store_b64 v[0:1], v[12:13], off
	global_wb scope:SCOPE_SYS
	s_wait_storecnt 0x0
	s_wait_xcnt 0x0
	global_atomic_cmpswap_b64 v[10:11], v5, v[10:13], s[2:3] offset:24 th:TH_ATOMIC_RETURN scope:SCOPE_SYS
	s_wait_loadcnt 0x0
	v_cmp_eq_u64_e32 vcc_lo, v[10:11], v[12:13]
	v_mov_b64_e32 v[12:13], v[10:11]
	s_or_b32 s4, vcc_lo, s4
	s_delay_alu instid0(SALU_CYCLE_1)
	s_and_not1_b32 exec_lo, exec_lo, s4
	s_cbranch_execnz .LBB10_140
.LBB10_141:
	s_or_b32 exec_lo, exec_lo, s6
.LBB10_142:
	v_mov_b64_e32 v[0:1], v[2:3]
	s_mov_b32 s0, 0
.LBB10_143:                             ; =>This Inner Loop Header: Depth=1
	global_load_u8 v5, v[0:1], off
	s_wait_xcnt 0x0
	v_add_nc_u64_e32 v[0:1], 1, v[0:1]
	s_wait_loadcnt 0x0
	v_cmp_eq_u16_e32 vcc_lo, 0, v5
	s_or_b32 s0, vcc_lo, s0
	s_delay_alu instid0(SALU_CYCLE_1)
	s_and_not1_b32 exec_lo, exec_lo, s0
	s_cbranch_execnz .LBB10_143
; %bb.144:
	s_or_b32 exec_lo, exec_lo, s0
	s_delay_alu instid0(SALU_CYCLE_1)
	s_mov_b32 s0, exec_lo
	v_cmpx_ne_u64_e32 0, v[2:3]
	s_xor_b32 s6, exec_lo, s0
	s_cbranch_execz .LBB10_230
; %bb.145:
	v_dual_sub_nc_u32 v0, v0, v2 :: v_dual_bitop2_b32 v32, 2, v8 bitop3:0x40
	v_mov_b64_e32 v[14:15], 0x100000002
	v_dual_mov_b32 v35, 0 :: v_dual_bitop2_b32 v8, -3, v8 bitop3:0x40
	s_delay_alu instid0(VALU_DEP_3)
	v_ashrrev_i32_e32 v1, 31, v0
	s_mov_b32 s10, 0
	s_mov_b32 s7, 0
	s_branch .LBB10_147
.LBB10_146:                             ;   in Loop: Header=BB10_147 Depth=1
	s_or_b32 exec_lo, exec_lo, s11
	v_sub_nc_u64_e32 v[0:1], v[0:1], v[38:39]
	v_add_nc_u64_e32 v[2:3], v[2:3], v[38:39]
	s_delay_alu instid0(VALU_DEP_2) | instskip(SKIP_1) | instid1(SALU_CYCLE_1)
	v_cmp_eq_u64_e32 vcc_lo, 0, v[0:1]
	s_or_b32 s7, vcc_lo, s7
	s_and_not1_b32 exec_lo, exec_lo, s7
	s_cbranch_execz .LBB10_229
.LBB10_147:                             ; =>This Loop Header: Depth=1
                                        ;     Child Loop BB10_150 Depth 2
                                        ;     Child Loop BB10_158 Depth 2
                                        ;     Child Loop BB10_166 Depth 2
                                        ;     Child Loop BB10_174 Depth 2
                                        ;     Child Loop BB10_182 Depth 2
                                        ;     Child Loop BB10_190 Depth 2
                                        ;     Child Loop BB10_198 Depth 2
                                        ;     Child Loop BB10_206 Depth 2
                                        ;     Child Loop BB10_214 Depth 2
                                        ;     Child Loop BB10_223 Depth 2
                                        ;     Child Loop BB10_228 Depth 2
	s_delay_alu instid0(VALU_DEP_1) | instskip(NEXT) | instid1(VALU_DEP_3)
	v_min_u64 v[38:39], v[0:1], 56
	v_add_nc_u64_e32 v[18:19], 8, v[2:3]
	s_mov_b32 s0, exec_lo
	v_cmpx_gt_u64_e32 8, v[0:1]
	s_xor_b32 s4, exec_lo, s0
	s_cbranch_execz .LBB10_153
; %bb.148:                              ;   in Loop: Header=BB10_147 Depth=1
	v_mov_b64_e32 v[10:11], 0
	s_mov_b32 s5, exec_lo
	v_cmpx_ne_u64_e32 0, v[0:1]
	s_cbranch_execz .LBB10_152
; %bb.149:                              ;   in Loop: Header=BB10_147 Depth=1
	v_mov_b64_e32 v[10:11], 0
	v_mov_b64_e32 v[16:17], v[2:3]
	v_lshlrev_b32_e32 v12, 3, v38
	s_mov_b64 s[0:1], 0
	s_mov_b32 s11, 0
.LBB10_150:                             ;   Parent Loop BB10_147 Depth=1
                                        ; =>  This Inner Loop Header: Depth=2
	global_load_u8 v5, v[16:17], off
	v_mov_b32_e32 v19, s10
	s_wait_xcnt 0x0
	v_add_nc_u64_e32 v[16:17], 1, v[16:17]
	s_wait_loadcnt 0x0
	v_and_b32_e32 v18, 0xffff, v5
	s_delay_alu instid0(VALU_DEP_1) | instskip(SKIP_1) | instid1(SALU_CYCLE_1)
	v_lshlrev_b64_e32 v[18:19], s0, v[18:19]
	s_add_nc_u64 s[0:1], s[0:1], 8
	v_cmp_eq_u32_e32 vcc_lo, s0, v12
	s_delay_alu instid0(VALU_DEP_2) | instskip(NEXT) | instid1(VALU_DEP_3)
	v_or_b32_e32 v11, v19, v11
	v_or_b32_e32 v10, v18, v10
	s_or_b32 s11, vcc_lo, s11
	s_delay_alu instid0(SALU_CYCLE_1)
	s_and_not1_b32 exec_lo, exec_lo, s11
	s_cbranch_execnz .LBB10_150
; %bb.151:                              ;   in Loop: Header=BB10_147 Depth=1
	s_or_b32 exec_lo, exec_lo, s11
.LBB10_152:                             ;   in Loop: Header=BB10_147 Depth=1
	s_delay_alu instid0(SALU_CYCLE_1)
	s_or_b32 exec_lo, exec_lo, s5
	v_mov_b64_e32 v[18:19], v[2:3]
.LBB10_153:                             ;   in Loop: Header=BB10_147 Depth=1
	s_or_saveexec_b32 s0, s4
	v_mov_b32_e32 v5, 0
	s_xor_b32 exec_lo, exec_lo, s0
	s_cbranch_execz .LBB10_155
; %bb.154:                              ;   in Loop: Header=BB10_147 Depth=1
	global_load_b64 v[10:11], v[2:3], off
	v_add_nc_u32_e32 v5, -8, v38
.LBB10_155:                             ;   in Loop: Header=BB10_147 Depth=1
	s_wait_xcnt 0x0
	s_or_b32 exec_lo, exec_lo, s0
	v_add_nc_u64_e32 v[12:13], 8, v[18:19]
                                        ; implicit-def: $vgpr16_vgpr17
	s_mov_b32 s0, exec_lo
	v_cmpx_gt_u32_e32 8, v5
	s_xor_b32 s11, exec_lo, s0
	s_cbranch_execz .LBB10_161
; %bb.156:                              ;   in Loop: Header=BB10_147 Depth=1
	v_mov_b64_e32 v[16:17], 0
	s_mov_b32 s12, exec_lo
	v_cmpx_ne_u32_e32 0, v5
	s_cbranch_execz .LBB10_160
; %bb.157:                              ;   in Loop: Header=BB10_147 Depth=1
	v_mov_b64_e32 v[16:17], 0
	s_mov_b64 s[0:1], 0
	s_mov_b32 s13, 0
	s_mov_b64 s[4:5], 0
.LBB10_158:                             ;   Parent Loop BB10_147 Depth=1
                                        ; =>  This Inner Loop Header: Depth=2
	s_delay_alu instid0(SALU_CYCLE_1) | instskip(SKIP_1) | instid1(SALU_CYCLE_1)
	v_add_nc_u64_e32 v[12:13], s[4:5], v[18:19]
	s_add_nc_u64 s[4:5], s[4:5], 1
	v_cmp_eq_u32_e32 vcc_lo, s4, v5
	global_load_u8 v12, v[12:13], off
	s_wait_xcnt 0x0
	v_mov_b32_e32 v13, s10
	s_or_b32 s13, vcc_lo, s13
	s_wait_loadcnt 0x0
	v_and_b32_e32 v12, 0xffff, v12
	s_delay_alu instid0(VALU_DEP_1) | instskip(SKIP_1) | instid1(VALU_DEP_1)
	v_lshlrev_b64_e32 v[12:13], s0, v[12:13]
	s_add_nc_u64 s[0:1], s[0:1], 8
	v_or_b32_e32 v17, v13, v17
	s_delay_alu instid0(VALU_DEP_2)
	v_or_b32_e32 v16, v12, v16
	s_and_not1_b32 exec_lo, exec_lo, s13
	s_cbranch_execnz .LBB10_158
; %bb.159:                              ;   in Loop: Header=BB10_147 Depth=1
	s_or_b32 exec_lo, exec_lo, s13
.LBB10_160:                             ;   in Loop: Header=BB10_147 Depth=1
	s_delay_alu instid0(SALU_CYCLE_1)
	s_or_b32 exec_lo, exec_lo, s12
	v_mov_b64_e32 v[12:13], v[18:19]
                                        ; implicit-def: $vgpr5
.LBB10_161:                             ;   in Loop: Header=BB10_147 Depth=1
	s_or_saveexec_b32 s0, s11
	v_mov_b32_e32 v20, 0
	s_xor_b32 exec_lo, exec_lo, s0
	s_cbranch_execz .LBB10_163
; %bb.162:                              ;   in Loop: Header=BB10_147 Depth=1
	global_load_b64 v[16:17], v[18:19], off
	v_add_nc_u32_e32 v20, -8, v5
.LBB10_163:                             ;   in Loop: Header=BB10_147 Depth=1
	s_wait_xcnt 0x0
	s_or_b32 exec_lo, exec_lo, s0
	v_add_nc_u64_e32 v[22:23], 8, v[12:13]
	s_mov_b32 s0, exec_lo
	v_cmpx_gt_u32_e32 8, v20
	s_xor_b32 s11, exec_lo, s0
	s_cbranch_execz .LBB10_169
; %bb.164:                              ;   in Loop: Header=BB10_147 Depth=1
	v_mov_b64_e32 v[18:19], 0
	s_mov_b32 s12, exec_lo
	v_cmpx_ne_u32_e32 0, v20
	s_cbranch_execz .LBB10_168
; %bb.165:                              ;   in Loop: Header=BB10_147 Depth=1
	v_mov_b64_e32 v[18:19], 0
	s_mov_b64 s[0:1], 0
	s_mov_b32 s13, 0
	s_mov_b64 s[4:5], 0
.LBB10_166:                             ;   Parent Loop BB10_147 Depth=1
                                        ; =>  This Inner Loop Header: Depth=2
	s_delay_alu instid0(SALU_CYCLE_1) | instskip(SKIP_1) | instid1(SALU_CYCLE_1)
	v_add_nc_u64_e32 v[22:23], s[4:5], v[12:13]
	s_add_nc_u64 s[4:5], s[4:5], 1
	v_cmp_eq_u32_e32 vcc_lo, s4, v20
	global_load_u8 v5, v[22:23], off
	s_wait_xcnt 0x0
	v_mov_b32_e32 v23, s10
	s_or_b32 s13, vcc_lo, s13
	s_wait_loadcnt 0x0
	v_and_b32_e32 v22, 0xffff, v5
	s_delay_alu instid0(VALU_DEP_1) | instskip(SKIP_1) | instid1(VALU_DEP_1)
	v_lshlrev_b64_e32 v[22:23], s0, v[22:23]
	s_add_nc_u64 s[0:1], s[0:1], 8
	v_or_b32_e32 v19, v23, v19
	s_delay_alu instid0(VALU_DEP_2)
	v_or_b32_e32 v18, v22, v18
	s_and_not1_b32 exec_lo, exec_lo, s13
	s_cbranch_execnz .LBB10_166
; %bb.167:                              ;   in Loop: Header=BB10_147 Depth=1
	s_or_b32 exec_lo, exec_lo, s13
.LBB10_168:                             ;   in Loop: Header=BB10_147 Depth=1
	s_delay_alu instid0(SALU_CYCLE_1)
	s_or_b32 exec_lo, exec_lo, s12
	v_mov_b64_e32 v[22:23], v[12:13]
                                        ; implicit-def: $vgpr20
.LBB10_169:                             ;   in Loop: Header=BB10_147 Depth=1
	s_or_saveexec_b32 s0, s11
	v_mov_b32_e32 v5, 0
	s_xor_b32 exec_lo, exec_lo, s0
	s_cbranch_execz .LBB10_171
; %bb.170:                              ;   in Loop: Header=BB10_147 Depth=1
	global_load_b64 v[18:19], v[12:13], off
	v_add_nc_u32_e32 v5, -8, v20
.LBB10_171:                             ;   in Loop: Header=BB10_147 Depth=1
	s_wait_xcnt 0x0
	s_or_b32 exec_lo, exec_lo, s0
	v_add_nc_u64_e32 v[12:13], 8, v[22:23]
                                        ; implicit-def: $vgpr20_vgpr21
	s_mov_b32 s0, exec_lo
	v_cmpx_gt_u32_e32 8, v5
	s_xor_b32 s11, exec_lo, s0
	s_cbranch_execz .LBB10_177
; %bb.172:                              ;   in Loop: Header=BB10_147 Depth=1
	v_mov_b64_e32 v[20:21], 0
	s_mov_b32 s12, exec_lo
	v_cmpx_ne_u32_e32 0, v5
	s_cbranch_execz .LBB10_176
; %bb.173:                              ;   in Loop: Header=BB10_147 Depth=1
	v_mov_b64_e32 v[20:21], 0
	s_mov_b64 s[0:1], 0
	s_mov_b32 s13, 0
	s_mov_b64 s[4:5], 0
.LBB10_174:                             ;   Parent Loop BB10_147 Depth=1
                                        ; =>  This Inner Loop Header: Depth=2
	s_delay_alu instid0(SALU_CYCLE_1) | instskip(SKIP_1) | instid1(SALU_CYCLE_1)
	v_add_nc_u64_e32 v[12:13], s[4:5], v[22:23]
	s_add_nc_u64 s[4:5], s[4:5], 1
	v_cmp_eq_u32_e32 vcc_lo, s4, v5
	global_load_u8 v12, v[12:13], off
	s_wait_xcnt 0x0
	v_mov_b32_e32 v13, s10
	s_or_b32 s13, vcc_lo, s13
	s_wait_loadcnt 0x0
	v_and_b32_e32 v12, 0xffff, v12
	s_delay_alu instid0(VALU_DEP_1) | instskip(SKIP_1) | instid1(VALU_DEP_1)
	v_lshlrev_b64_e32 v[12:13], s0, v[12:13]
	s_add_nc_u64 s[0:1], s[0:1], 8
	v_or_b32_e32 v21, v13, v21
	s_delay_alu instid0(VALU_DEP_2)
	v_or_b32_e32 v20, v12, v20
	s_and_not1_b32 exec_lo, exec_lo, s13
	s_cbranch_execnz .LBB10_174
; %bb.175:                              ;   in Loop: Header=BB10_147 Depth=1
	s_or_b32 exec_lo, exec_lo, s13
.LBB10_176:                             ;   in Loop: Header=BB10_147 Depth=1
	s_delay_alu instid0(SALU_CYCLE_1)
	s_or_b32 exec_lo, exec_lo, s12
	v_mov_b64_e32 v[12:13], v[22:23]
                                        ; implicit-def: $vgpr5
.LBB10_177:                             ;   in Loop: Header=BB10_147 Depth=1
	s_or_saveexec_b32 s0, s11
	v_mov_b32_e32 v24, 0
	s_xor_b32 exec_lo, exec_lo, s0
	s_cbranch_execz .LBB10_179
; %bb.178:                              ;   in Loop: Header=BB10_147 Depth=1
	global_load_b64 v[20:21], v[22:23], off
	v_add_nc_u32_e32 v24, -8, v5
.LBB10_179:                             ;   in Loop: Header=BB10_147 Depth=1
	s_wait_xcnt 0x0
	s_or_b32 exec_lo, exec_lo, s0
	v_add_nc_u64_e32 v[26:27], 8, v[12:13]
	s_mov_b32 s0, exec_lo
	v_cmpx_gt_u32_e32 8, v24
	s_xor_b32 s11, exec_lo, s0
	s_cbranch_execz .LBB10_185
; %bb.180:                              ;   in Loop: Header=BB10_147 Depth=1
	v_mov_b64_e32 v[22:23], 0
	s_mov_b32 s12, exec_lo
	v_cmpx_ne_u32_e32 0, v24
	s_cbranch_execz .LBB10_184
; %bb.181:                              ;   in Loop: Header=BB10_147 Depth=1
	v_mov_b64_e32 v[22:23], 0
	s_mov_b64 s[0:1], 0
	s_mov_b32 s13, 0
	s_mov_b64 s[4:5], 0
.LBB10_182:                             ;   Parent Loop BB10_147 Depth=1
                                        ; =>  This Inner Loop Header: Depth=2
	s_delay_alu instid0(SALU_CYCLE_1) | instskip(SKIP_1) | instid1(SALU_CYCLE_1)
	v_add_nc_u64_e32 v[26:27], s[4:5], v[12:13]
	s_add_nc_u64 s[4:5], s[4:5], 1
	v_cmp_eq_u32_e32 vcc_lo, s4, v24
	global_load_u8 v5, v[26:27], off
	s_wait_xcnt 0x0
	v_mov_b32_e32 v27, s10
	s_or_b32 s13, vcc_lo, s13
	s_wait_loadcnt 0x0
	v_and_b32_e32 v26, 0xffff, v5
	s_delay_alu instid0(VALU_DEP_1) | instskip(SKIP_1) | instid1(VALU_DEP_1)
	v_lshlrev_b64_e32 v[26:27], s0, v[26:27]
	s_add_nc_u64 s[0:1], s[0:1], 8
	v_or_b32_e32 v23, v27, v23
	s_delay_alu instid0(VALU_DEP_2)
	v_or_b32_e32 v22, v26, v22
	s_and_not1_b32 exec_lo, exec_lo, s13
	s_cbranch_execnz .LBB10_182
; %bb.183:                              ;   in Loop: Header=BB10_147 Depth=1
	s_or_b32 exec_lo, exec_lo, s13
.LBB10_184:                             ;   in Loop: Header=BB10_147 Depth=1
	s_delay_alu instid0(SALU_CYCLE_1)
	s_or_b32 exec_lo, exec_lo, s12
	v_mov_b64_e32 v[26:27], v[12:13]
                                        ; implicit-def: $vgpr24
.LBB10_185:                             ;   in Loop: Header=BB10_147 Depth=1
	s_or_saveexec_b32 s0, s11
	v_mov_b32_e32 v5, 0
	s_xor_b32 exec_lo, exec_lo, s0
	s_cbranch_execz .LBB10_187
; %bb.186:                              ;   in Loop: Header=BB10_147 Depth=1
	global_load_b64 v[22:23], v[12:13], off
	v_add_nc_u32_e32 v5, -8, v24
.LBB10_187:                             ;   in Loop: Header=BB10_147 Depth=1
	s_wait_xcnt 0x0
	s_or_b32 exec_lo, exec_lo, s0
	v_add_nc_u64_e32 v[12:13], 8, v[26:27]
                                        ; implicit-def: $vgpr24_vgpr25
	s_mov_b32 s0, exec_lo
	v_cmpx_gt_u32_e32 8, v5
	s_xor_b32 s11, exec_lo, s0
	s_cbranch_execz .LBB10_193
; %bb.188:                              ;   in Loop: Header=BB10_147 Depth=1
	v_mov_b64_e32 v[24:25], 0
	s_mov_b32 s12, exec_lo
	v_cmpx_ne_u32_e32 0, v5
	s_cbranch_execz .LBB10_192
; %bb.189:                              ;   in Loop: Header=BB10_147 Depth=1
	v_mov_b64_e32 v[24:25], 0
	s_mov_b64 s[0:1], 0
	s_mov_b32 s13, 0
	s_mov_b64 s[4:5], 0
.LBB10_190:                             ;   Parent Loop BB10_147 Depth=1
                                        ; =>  This Inner Loop Header: Depth=2
	s_delay_alu instid0(SALU_CYCLE_1) | instskip(SKIP_1) | instid1(SALU_CYCLE_1)
	v_add_nc_u64_e32 v[12:13], s[4:5], v[26:27]
	s_add_nc_u64 s[4:5], s[4:5], 1
	v_cmp_eq_u32_e32 vcc_lo, s4, v5
	global_load_u8 v12, v[12:13], off
	s_wait_xcnt 0x0
	v_mov_b32_e32 v13, s10
	s_or_b32 s13, vcc_lo, s13
	s_wait_loadcnt 0x0
	v_and_b32_e32 v12, 0xffff, v12
	s_delay_alu instid0(VALU_DEP_1) | instskip(SKIP_1) | instid1(VALU_DEP_1)
	v_lshlrev_b64_e32 v[12:13], s0, v[12:13]
	s_add_nc_u64 s[0:1], s[0:1], 8
	v_or_b32_e32 v25, v13, v25
	s_delay_alu instid0(VALU_DEP_2)
	v_or_b32_e32 v24, v12, v24
	s_and_not1_b32 exec_lo, exec_lo, s13
	s_cbranch_execnz .LBB10_190
; %bb.191:                              ;   in Loop: Header=BB10_147 Depth=1
	s_or_b32 exec_lo, exec_lo, s13
.LBB10_192:                             ;   in Loop: Header=BB10_147 Depth=1
	s_delay_alu instid0(SALU_CYCLE_1)
	s_or_b32 exec_lo, exec_lo, s12
	v_mov_b64_e32 v[12:13], v[26:27]
                                        ; implicit-def: $vgpr5
.LBB10_193:                             ;   in Loop: Header=BB10_147 Depth=1
	s_or_saveexec_b32 s0, s11
	v_mov_b32_e32 v28, 0
	s_xor_b32 exec_lo, exec_lo, s0
	s_cbranch_execz .LBB10_195
; %bb.194:                              ;   in Loop: Header=BB10_147 Depth=1
	global_load_b64 v[24:25], v[26:27], off
	v_add_nc_u32_e32 v28, -8, v5
.LBB10_195:                             ;   in Loop: Header=BB10_147 Depth=1
	s_wait_xcnt 0x0
	s_or_b32 exec_lo, exec_lo, s0
	s_delay_alu instid0(SALU_CYCLE_1) | instskip(NEXT) | instid1(VALU_DEP_1)
	s_mov_b32 s0, exec_lo
	v_cmpx_gt_u32_e32 8, v28
	s_xor_b32 s4, exec_lo, s0
	s_cbranch_execz .LBB10_201
; %bb.196:                              ;   in Loop: Header=BB10_147 Depth=1
	v_mov_b64_e32 v[26:27], 0
	s_mov_b32 s5, exec_lo
	v_cmpx_ne_u32_e32 0, v28
	s_cbranch_execz .LBB10_200
; %bb.197:                              ;   in Loop: Header=BB10_147 Depth=1
	v_mov_b64_e32 v[26:27], 0
	s_mov_b64 s[0:1], 0
	s_mov_b32 s11, 0
.LBB10_198:                             ;   Parent Loop BB10_147 Depth=1
                                        ; =>  This Inner Loop Header: Depth=2
	global_load_u8 v5, v[12:13], off
	v_dual_mov_b32 v31, s10 :: v_dual_add_nc_u32 v28, -1, v28
	s_wait_xcnt 0x0
	v_add_nc_u64_e32 v[12:13], 1, v[12:13]
	s_delay_alu instid0(VALU_DEP_2) | instskip(SKIP_3) | instid1(VALU_DEP_1)
	v_cmp_eq_u32_e32 vcc_lo, 0, v28
	s_or_b32 s11, vcc_lo, s11
	s_wait_loadcnt 0x0
	v_and_b32_e32 v30, 0xffff, v5
	v_lshlrev_b64_e32 v[30:31], s0, v[30:31]
	s_add_nc_u64 s[0:1], s[0:1], 8
	s_delay_alu instid0(VALU_DEP_1) | instskip(NEXT) | instid1(VALU_DEP_2)
	v_or_b32_e32 v27, v31, v27
	v_or_b32_e32 v26, v30, v26
	s_and_not1_b32 exec_lo, exec_lo, s11
	s_cbranch_execnz .LBB10_198
; %bb.199:                              ;   in Loop: Header=BB10_147 Depth=1
	s_or_b32 exec_lo, exec_lo, s11
.LBB10_200:                             ;   in Loop: Header=BB10_147 Depth=1
	s_delay_alu instid0(SALU_CYCLE_1)
	s_or_b32 exec_lo, exec_lo, s5
                                        ; implicit-def: $vgpr12_vgpr13
.LBB10_201:                             ;   in Loop: Header=BB10_147 Depth=1
	s_and_not1_saveexec_b32 s0, s4
	s_cbranch_execz .LBB10_203
; %bb.202:                              ;   in Loop: Header=BB10_147 Depth=1
	global_load_b64 v[26:27], v[12:13], off
.LBB10_203:                             ;   in Loop: Header=BB10_147 Depth=1
	s_wait_xcnt 0x0
	s_or_b32 exec_lo, exec_lo, s0
	v_readfirstlane_b32 s0, v54
	v_mov_b64_e32 v[12:13], 0
	s_delay_alu instid0(VALU_DEP_2)
	v_cmp_eq_u32_e64 s0, s0, v54
	s_and_saveexec_b32 s1, s0
	s_cbranch_execz .LBB10_209
; %bb.204:                              ;   in Loop: Header=BB10_147 Depth=1
	global_load_b64 v[30:31], v35, s[2:3] offset:24 scope:SCOPE_SYS
	s_wait_loadcnt 0x0
	global_inv scope:SCOPE_SYS
	s_clause 0x1
	global_load_b64 v[12:13], v35, s[2:3] offset:40
	global_load_b64 v[28:29], v35, s[2:3]
	s_mov_b32 s4, exec_lo
	s_wait_loadcnt 0x1
	v_and_b32_e32 v12, v12, v30
	v_and_b32_e32 v13, v13, v31
	s_delay_alu instid0(VALU_DEP_1) | instskip(SKIP_1) | instid1(VALU_DEP_1)
	v_mul_u64_e32 v[12:13], 24, v[12:13]
	s_wait_loadcnt 0x0
	v_add_nc_u64_e32 v[12:13], v[28:29], v[12:13]
	global_load_b64 v[28:29], v[12:13], off scope:SCOPE_SYS
	s_wait_xcnt 0x0
	s_wait_loadcnt 0x0
	global_atomic_cmpswap_b64 v[12:13], v35, v[28:31], s[2:3] offset:24 th:TH_ATOMIC_RETURN scope:SCOPE_SYS
	s_wait_loadcnt 0x0
	global_inv scope:SCOPE_SYS
	s_wait_xcnt 0x0
	v_cmpx_ne_u64_e64 v[12:13], v[30:31]
	s_cbranch_execz .LBB10_208
; %bb.205:                              ;   in Loop: Header=BB10_147 Depth=1
	s_mov_b32 s5, 0
.LBB10_206:                             ;   Parent Loop BB10_147 Depth=1
                                        ; =>  This Inner Loop Header: Depth=2
	s_sleep 1
	s_clause 0x1
	global_load_b64 v[28:29], v35, s[2:3] offset:40
	global_load_b64 v[48:49], v35, s[2:3]
	v_mov_b64_e32 v[30:31], v[12:13]
	s_wait_loadcnt 0x1
	s_delay_alu instid0(VALU_DEP_1) | instskip(SKIP_1) | instid1(VALU_DEP_1)
	v_and_b32_e32 v5, v28, v30
	s_wait_loadcnt 0x0
	v_mad_nc_u64_u32 v[12:13], v5, 24, v[48:49]
	s_delay_alu instid0(VALU_DEP_3) | instskip(NEXT) | instid1(VALU_DEP_1)
	v_and_b32_e32 v5, v29, v31
	v_mad_u32 v13, v5, 24, v13
	global_load_b64 v[28:29], v[12:13], off scope:SCOPE_SYS
	s_wait_xcnt 0x0
	s_wait_loadcnt 0x0
	global_atomic_cmpswap_b64 v[12:13], v35, v[28:31], s[2:3] offset:24 th:TH_ATOMIC_RETURN scope:SCOPE_SYS
	s_wait_loadcnt 0x0
	global_inv scope:SCOPE_SYS
	v_cmp_eq_u64_e32 vcc_lo, v[12:13], v[30:31]
	s_or_b32 s5, vcc_lo, s5
	s_wait_xcnt 0x0
	s_and_not1_b32 exec_lo, exec_lo, s5
	s_cbranch_execnz .LBB10_206
; %bb.207:                              ;   in Loop: Header=BB10_147 Depth=1
	s_or_b32 exec_lo, exec_lo, s5
.LBB10_208:                             ;   in Loop: Header=BB10_147 Depth=1
	s_delay_alu instid0(SALU_CYCLE_1)
	s_or_b32 exec_lo, exec_lo, s4
.LBB10_209:                             ;   in Loop: Header=BB10_147 Depth=1
	s_delay_alu instid0(SALU_CYCLE_1)
	s_or_b32 exec_lo, exec_lo, s1
	s_clause 0x1
	global_load_b64 v[48:49], v35, s[2:3] offset:40
	global_load_b128 v[28:31], v35, s[2:3]
	v_readfirstlane_b32 s4, v12
	v_readfirstlane_b32 s5, v13
	s_mov_b32 s1, exec_lo
	s_wait_loadcnt 0x1
	v_and_b32_e32 v50, s4, v48
	v_and_b32_e32 v51, s5, v49
	s_delay_alu instid0(VALU_DEP_1) | instskip(SKIP_1) | instid1(VALU_DEP_1)
	v_mul_u64_e32 v[12:13], 24, v[50:51]
	s_wait_loadcnt 0x0
	v_add_nc_u64_e32 v[48:49], v[28:29], v[12:13]
	s_wait_xcnt 0x0
	s_and_saveexec_b32 s11, s0
	s_cbranch_execz .LBB10_211
; %bb.210:                              ;   in Loop: Header=BB10_147 Depth=1
	v_dual_mov_b32 v12, s1 :: v_dual_mov_b32 v13, v35
	global_store_b128 v[48:49], v[12:15], off offset:8
.LBB10_211:                             ;   in Loop: Header=BB10_147 Depth=1
	s_wait_xcnt 0x0
	s_or_b32 exec_lo, exec_lo, s11
	v_cmp_gt_u64_e32 vcc_lo, 57, v[0:1]
	v_lshlrev_b64_e32 v[12:13], 12, v[50:51]
	v_and_b32_e32 v8, 0xffffff1f, v8
	v_lshl_add_u32 v33, v38, 2, 28
	v_cndmask_b32_e32 v5, 0, v32, vcc_lo
	s_delay_alu instid0(VALU_DEP_4) | instskip(NEXT) | instid1(VALU_DEP_2)
	v_add_nc_u64_e32 v[12:13], v[30:31], v[12:13]
	v_or_b32_e32 v5, v8, v5
	s_delay_alu instid0(VALU_DEP_2) | instskip(NEXT) | instid1(VALU_DEP_3)
	v_readfirstlane_b32 s12, v12
	v_readfirstlane_b32 s13, v13
	s_delay_alu instid0(VALU_DEP_3)
	v_and_or_b32 v8, 0x1e0, v33, v5
	s_clause 0x3
	global_store_b128 v34, v[8:11], s[12:13]
	global_store_b128 v34, v[16:19], s[12:13] offset:16
	global_store_b128 v34, v[20:23], s[12:13] offset:32
	;; [unrolled: 1-line block ×3, first 2 shown]
	s_wait_xcnt 0x0
	s_and_saveexec_b32 s1, s0
	s_cbranch_execz .LBB10_219
; %bb.212:                              ;   in Loop: Header=BB10_147 Depth=1
	s_clause 0x1
	global_load_b64 v[20:21], v35, s[2:3] offset:32 scope:SCOPE_SYS
	global_load_b64 v[8:9], v35, s[2:3] offset:40
	s_mov_b32 s11, exec_lo
	v_dual_mov_b32 v18, s4 :: v_dual_mov_b32 v19, s5
	s_wait_loadcnt 0x0
	v_and_b32_e32 v9, s5, v9
	v_and_b32_e32 v8, s4, v8
	s_delay_alu instid0(VALU_DEP_1) | instskip(NEXT) | instid1(VALU_DEP_1)
	v_mul_u64_e32 v[8:9], 24, v[8:9]
	v_add_nc_u64_e32 v[16:17], v[28:29], v[8:9]
	global_store_b64 v[16:17], v[20:21], off
	global_wb scope:SCOPE_SYS
	s_wait_storecnt 0x0
	s_wait_xcnt 0x0
	global_atomic_cmpswap_b64 v[10:11], v35, v[18:21], s[2:3] offset:32 th:TH_ATOMIC_RETURN scope:SCOPE_SYS
	s_wait_loadcnt 0x0
	v_cmpx_ne_u64_e64 v[10:11], v[20:21]
	s_cbranch_execz .LBB10_215
; %bb.213:                              ;   in Loop: Header=BB10_147 Depth=1
	s_mov_b32 s12, 0
.LBB10_214:                             ;   Parent Loop BB10_147 Depth=1
                                        ; =>  This Inner Loop Header: Depth=2
	v_dual_mov_b32 v8, s4 :: v_dual_mov_b32 v9, s5
	s_sleep 1
	global_store_b64 v[16:17], v[10:11], off
	global_wb scope:SCOPE_SYS
	s_wait_storecnt 0x0
	s_wait_xcnt 0x0
	global_atomic_cmpswap_b64 v[8:9], v35, v[8:11], s[2:3] offset:32 th:TH_ATOMIC_RETURN scope:SCOPE_SYS
	s_wait_loadcnt 0x0
	v_cmp_eq_u64_e32 vcc_lo, v[8:9], v[10:11]
	v_mov_b64_e32 v[10:11], v[8:9]
	s_or_b32 s12, vcc_lo, s12
	s_delay_alu instid0(SALU_CYCLE_1)
	s_and_not1_b32 exec_lo, exec_lo, s12
	s_cbranch_execnz .LBB10_214
.LBB10_215:                             ;   in Loop: Header=BB10_147 Depth=1
	s_or_b32 exec_lo, exec_lo, s11
	global_load_b64 v[8:9], v35, s[2:3] offset:16
	s_mov_b32 s12, exec_lo
	s_mov_b32 s11, exec_lo
	v_mbcnt_lo_u32_b32 v5, s12, 0
	s_wait_xcnt 0x0
	s_delay_alu instid0(VALU_DEP_1)
	v_cmpx_eq_u32_e32 0, v5
	s_cbranch_execz .LBB10_217
; %bb.216:                              ;   in Loop: Header=BB10_147 Depth=1
	s_bcnt1_i32_b32 s12, s12
	s_delay_alu instid0(SALU_CYCLE_1)
	v_dual_mov_b32 v11, v35 :: v_dual_mov_b32 v10, s12
	global_wb scope:SCOPE_SYS
	s_wait_loadcnt 0x0
	s_wait_storecnt 0x0
	global_atomic_add_u64 v[8:9], v[10:11], off offset:8 scope:SCOPE_SYS
.LBB10_217:                             ;   in Loop: Header=BB10_147 Depth=1
	s_wait_xcnt 0x0
	s_or_b32 exec_lo, exec_lo, s11
	s_wait_loadcnt 0x0
	global_load_b64 v[10:11], v[8:9], off offset:16
	s_wait_loadcnt 0x0
	v_cmp_eq_u64_e32 vcc_lo, 0, v[10:11]
	s_cbranch_vccnz .LBB10_219
; %bb.218:                              ;   in Loop: Header=BB10_147 Depth=1
	global_load_b32 v8, v[8:9], off offset:24
	s_wait_xcnt 0x0
	v_mov_b32_e32 v9, v35
	s_wait_loadcnt 0x0
	v_readfirstlane_b32 s11, v8
	global_wb scope:SCOPE_SYS
	s_wait_storecnt 0x0
	global_store_b64 v[10:11], v[8:9], off scope:SCOPE_SYS
	s_and_b32 m0, s11, 0xffffff
	s_sendmsg sendmsg(MSG_INTERRUPT)
.LBB10_219:                             ;   in Loop: Header=BB10_147 Depth=1
	s_wait_xcnt 0x0
	s_or_b32 exec_lo, exec_lo, s1
	v_add_nc_u64_e32 v[8:9], v[12:13], v[34:35]
	s_branch .LBB10_223
.LBB10_220:                             ;   in Loop: Header=BB10_223 Depth=2
	s_wait_xcnt 0x0
	s_or_b32 exec_lo, exec_lo, s1
	s_delay_alu instid0(VALU_DEP_1)
	v_readfirstlane_b32 s1, v5
	s_cmp_eq_u32 s1, 0
	s_cbranch_scc1 .LBB10_222
; %bb.221:                              ;   in Loop: Header=BB10_223 Depth=2
	s_sleep 1
	s_cbranch_execnz .LBB10_223
	s_branch .LBB10_225
.LBB10_222:                             ;   in Loop: Header=BB10_147 Depth=1
	s_branch .LBB10_225
.LBB10_223:                             ;   Parent Loop BB10_147 Depth=1
                                        ; =>  This Inner Loop Header: Depth=2
	v_mov_b32_e32 v5, 1
	s_and_saveexec_b32 s1, s0
	s_cbranch_execz .LBB10_220
; %bb.224:                              ;   in Loop: Header=BB10_223 Depth=2
	global_load_b32 v5, v[48:49], off offset:20 scope:SCOPE_SYS
	s_wait_loadcnt 0x0
	global_inv scope:SCOPE_SYS
	v_and_b32_e32 v5, 1, v5
	s_branch .LBB10_220
.LBB10_225:                             ;   in Loop: Header=BB10_147 Depth=1
	global_load_b64 v[8:9], v[8:9], off
	s_wait_xcnt 0x0
	s_and_saveexec_b32 s11, s0
	s_cbranch_execz .LBB10_146
; %bb.226:                              ;   in Loop: Header=BB10_147 Depth=1
	s_clause 0x2
	global_load_b64 v[10:11], v35, s[2:3] offset:40
	global_load_b64 v[20:21], v35, s[2:3] offset:24 scope:SCOPE_SYS
	global_load_b64 v[12:13], v35, s[2:3]
	s_wait_loadcnt 0x2
	v_readfirstlane_b32 s12, v10
	v_readfirstlane_b32 s13, v11
	s_add_nc_u64 s[0:1], s[12:13], 1
	s_delay_alu instid0(SALU_CYCLE_1) | instskip(NEXT) | instid1(SALU_CYCLE_1)
	s_add_nc_u64 s[4:5], s[0:1], s[4:5]
	s_cmp_eq_u64 s[4:5], 0
	s_cselect_b32 s1, s1, s5
	s_cselect_b32 s0, s0, s4
	s_delay_alu instid0(SALU_CYCLE_1) | instskip(SKIP_1) | instid1(SALU_CYCLE_1)
	v_dual_mov_b32 v19, s1 :: v_dual_mov_b32 v18, s0
	s_and_b64 s[4:5], s[0:1], s[12:13]
	s_mul_u64 s[4:5], s[4:5], 24
	s_wait_loadcnt 0x0
	v_add_nc_u64_e32 v[16:17], s[4:5], v[12:13]
	global_store_b64 v[16:17], v[20:21], off
	global_wb scope:SCOPE_SYS
	s_wait_storecnt 0x0
	s_wait_xcnt 0x0
	global_atomic_cmpswap_b64 v[12:13], v35, v[18:21], s[2:3] offset:24 th:TH_ATOMIC_RETURN scope:SCOPE_SYS
	s_wait_loadcnt 0x0
	v_cmp_ne_u64_e32 vcc_lo, v[12:13], v[20:21]
	s_and_b32 exec_lo, exec_lo, vcc_lo
	s_cbranch_execz .LBB10_146
; %bb.227:                              ;   in Loop: Header=BB10_147 Depth=1
	s_mov_b32 s4, 0
.LBB10_228:                             ;   Parent Loop BB10_147 Depth=1
                                        ; =>  This Inner Loop Header: Depth=2
	v_dual_mov_b32 v10, s0 :: v_dual_mov_b32 v11, s1
	s_sleep 1
	global_store_b64 v[16:17], v[12:13], off
	global_wb scope:SCOPE_SYS
	s_wait_storecnt 0x0
	s_wait_xcnt 0x0
	global_atomic_cmpswap_b64 v[10:11], v35, v[10:13], s[2:3] offset:24 th:TH_ATOMIC_RETURN scope:SCOPE_SYS
	s_wait_loadcnt 0x0
	v_cmp_eq_u64_e32 vcc_lo, v[10:11], v[12:13]
	v_mov_b64_e32 v[12:13], v[10:11]
	s_or_b32 s4, vcc_lo, s4
	s_delay_alu instid0(SALU_CYCLE_1)
	s_and_not1_b32 exec_lo, exec_lo, s4
	s_cbranch_execnz .LBB10_228
	s_branch .LBB10_146
.LBB10_229:
	s_or_b32 exec_lo, exec_lo, s7
.LBB10_230:
	s_and_not1_saveexec_b32 s6, s6
	s_cbranch_execz .LBB10_258
; %bb.231:
	v_readfirstlane_b32 s0, v54
	v_mov_b64_e32 v[10:11], 0
	s_delay_alu instid0(VALU_DEP_2)
	v_cmp_eq_u32_e64 s0, s0, v54
	s_and_saveexec_b32 s1, s0
	s_cbranch_execz .LBB10_237
; %bb.232:
	v_mov_b32_e32 v0, 0
	s_mov_b32 s4, exec_lo
	global_load_b64 v[12:13], v0, s[2:3] offset:24 scope:SCOPE_SYS
	s_wait_loadcnt 0x0
	global_inv scope:SCOPE_SYS
	s_clause 0x1
	global_load_b64 v[2:3], v0, s[2:3] offset:40
	global_load_b64 v[10:11], v0, s[2:3]
	s_wait_loadcnt 0x1
	v_and_b32_e32 v2, v2, v12
	v_and_b32_e32 v3, v3, v13
	s_delay_alu instid0(VALU_DEP_1) | instskip(SKIP_1) | instid1(VALU_DEP_1)
	v_mul_u64_e32 v[2:3], 24, v[2:3]
	s_wait_loadcnt 0x0
	v_add_nc_u64_e32 v[2:3], v[10:11], v[2:3]
	global_load_b64 v[10:11], v[2:3], off scope:SCOPE_SYS
	s_wait_xcnt 0x0
	s_wait_loadcnt 0x0
	global_atomic_cmpswap_b64 v[10:11], v0, v[10:13], s[2:3] offset:24 th:TH_ATOMIC_RETURN scope:SCOPE_SYS
	s_wait_loadcnt 0x0
	global_inv scope:SCOPE_SYS
	s_wait_xcnt 0x0
	v_cmpx_ne_u64_e64 v[10:11], v[12:13]
	s_cbranch_execz .LBB10_236
; %bb.233:
	s_mov_b32 s5, 0
.LBB10_234:                             ; =>This Inner Loop Header: Depth=1
	s_sleep 1
	s_clause 0x1
	global_load_b64 v[2:3], v0, s[2:3] offset:40
	global_load_b64 v[14:15], v0, s[2:3]
	v_mov_b64_e32 v[12:13], v[10:11]
	s_wait_loadcnt 0x1
	s_delay_alu instid0(VALU_DEP_1) | instskip(SKIP_1) | instid1(VALU_DEP_1)
	v_and_b32_e32 v1, v2, v12
	s_wait_loadcnt 0x0
	v_mad_nc_u64_u32 v[10:11], v1, 24, v[14:15]
	s_delay_alu instid0(VALU_DEP_3) | instskip(NEXT) | instid1(VALU_DEP_1)
	v_and_b32_e32 v1, v3, v13
	v_mad_u32 v11, v1, 24, v11
	global_load_b64 v[10:11], v[10:11], off scope:SCOPE_SYS
	s_wait_xcnt 0x0
	s_wait_loadcnt 0x0
	global_atomic_cmpswap_b64 v[10:11], v0, v[10:13], s[2:3] offset:24 th:TH_ATOMIC_RETURN scope:SCOPE_SYS
	s_wait_loadcnt 0x0
	global_inv scope:SCOPE_SYS
	v_cmp_eq_u64_e32 vcc_lo, v[10:11], v[12:13]
	s_or_b32 s5, vcc_lo, s5
	s_wait_xcnt 0x0
	s_and_not1_b32 exec_lo, exec_lo, s5
	s_cbranch_execnz .LBB10_234
; %bb.235:
	s_or_b32 exec_lo, exec_lo, s5
.LBB10_236:
	s_delay_alu instid0(SALU_CYCLE_1)
	s_or_b32 exec_lo, exec_lo, s4
.LBB10_237:
	s_delay_alu instid0(SALU_CYCLE_1)
	s_or_b32 exec_lo, exec_lo, s1
	v_readfirstlane_b32 s4, v10
	v_mov_b32_e32 v35, 0
	v_readfirstlane_b32 s5, v11
	s_mov_b32 s1, exec_lo
	s_clause 0x1
	global_load_b64 v[12:13], v35, s[2:3] offset:40
	global_load_b128 v[0:3], v35, s[2:3]
	s_wait_loadcnt 0x1
	v_and_b32_e32 v10, s4, v12
	v_and_b32_e32 v11, s5, v13
	s_delay_alu instid0(VALU_DEP_1) | instskip(SKIP_1) | instid1(VALU_DEP_1)
	v_mul_u64_e32 v[12:13], 24, v[10:11]
	s_wait_loadcnt 0x0
	v_add_nc_u64_e32 v[12:13], v[0:1], v[12:13]
	s_wait_xcnt 0x0
	s_and_saveexec_b32 s7, s0
	s_cbranch_execz .LBB10_239
; %bb.238:
	v_mov_b64_e32 v[16:17], 0x100000002
	v_dual_mov_b32 v14, s1 :: v_dual_mov_b32 v15, v35
	global_store_b128 v[12:13], v[14:17], off offset:8
.LBB10_239:
	s_wait_xcnt 0x0
	s_or_b32 exec_lo, exec_lo, s7
	v_lshlrev_b64_e32 v[10:11], 12, v[10:11]
	s_mov_b32 s12, 0
	v_and_or_b32 v8, 0xffffff1f, v8, 32
	s_mov_b32 s14, s12
	s_mov_b32 s15, s12
	;; [unrolled: 1-line block ×3, first 2 shown]
	v_mov_b64_e32 v[18:19], s[14:15]
	v_add_nc_u64_e32 v[14:15], v[2:3], v[10:11]
	v_mov_b64_e32 v[16:17], s[12:13]
	v_dual_mov_b32 v10, v35 :: v_dual_mov_b32 v11, v35
	s_delay_alu instid0(VALU_DEP_3) | instskip(NEXT) | instid1(VALU_DEP_4)
	v_readfirstlane_b32 s10, v14
	v_readfirstlane_b32 s11, v15
	s_clause 0x3
	global_store_b128 v34, v[8:11], s[10:11]
	global_store_b128 v34, v[16:19], s[10:11] offset:16
	global_store_b128 v34, v[16:19], s[10:11] offset:32
	;; [unrolled: 1-line block ×3, first 2 shown]
	s_wait_xcnt 0x0
	s_and_saveexec_b32 s1, s0
	s_cbranch_execz .LBB10_247
; %bb.240:
	v_dual_mov_b32 v5, 0 :: v_dual_mov_b32 v17, s5
	s_mov_b32 s7, exec_lo
	s_clause 0x1
	global_load_b64 v[18:19], v5, s[2:3] offset:32 scope:SCOPE_SYS
	global_load_b64 v[2:3], v5, s[2:3] offset:40
	s_wait_loadcnt 0x0
	v_dual_mov_b32 v16, s4 :: v_dual_bitop2_b32 v3, s5, v3 bitop3:0x40
	v_and_b32_e32 v2, s4, v2
	s_delay_alu instid0(VALU_DEP_1) | instskip(NEXT) | instid1(VALU_DEP_1)
	v_mul_u64_e32 v[2:3], 24, v[2:3]
	v_add_nc_u64_e32 v[8:9], v[0:1], v[2:3]
	global_store_b64 v[8:9], v[18:19], off
	global_wb scope:SCOPE_SYS
	s_wait_storecnt 0x0
	s_wait_xcnt 0x0
	global_atomic_cmpswap_b64 v[2:3], v5, v[16:19], s[2:3] offset:32 th:TH_ATOMIC_RETURN scope:SCOPE_SYS
	s_wait_loadcnt 0x0
	v_cmpx_ne_u64_e64 v[2:3], v[18:19]
	s_cbranch_execz .LBB10_243
; %bb.241:
	s_mov_b32 s10, 0
.LBB10_242:                             ; =>This Inner Loop Header: Depth=1
	v_dual_mov_b32 v0, s4 :: v_dual_mov_b32 v1, s5
	s_sleep 1
	global_store_b64 v[8:9], v[2:3], off
	global_wb scope:SCOPE_SYS
	s_wait_storecnt 0x0
	s_wait_xcnt 0x0
	global_atomic_cmpswap_b64 v[0:1], v5, v[0:3], s[2:3] offset:32 th:TH_ATOMIC_RETURN scope:SCOPE_SYS
	s_wait_loadcnt 0x0
	v_cmp_eq_u64_e32 vcc_lo, v[0:1], v[2:3]
	v_mov_b64_e32 v[2:3], v[0:1]
	s_or_b32 s10, vcc_lo, s10
	s_delay_alu instid0(SALU_CYCLE_1)
	s_and_not1_b32 exec_lo, exec_lo, s10
	s_cbranch_execnz .LBB10_242
.LBB10_243:
	s_or_b32 exec_lo, exec_lo, s7
	v_mov_b32_e32 v3, 0
	s_mov_b32 s10, exec_lo
	s_mov_b32 s7, exec_lo
	v_mbcnt_lo_u32_b32 v2, s10, 0
	global_load_b64 v[0:1], v3, s[2:3] offset:16
	s_wait_xcnt 0x0
	v_cmpx_eq_u32_e32 0, v2
	s_cbranch_execz .LBB10_245
; %bb.244:
	s_bcnt1_i32_b32 s10, s10
	s_delay_alu instid0(SALU_CYCLE_1)
	v_mov_b32_e32 v2, s10
	global_wb scope:SCOPE_SYS
	s_wait_loadcnt 0x0
	s_wait_storecnt 0x0
	global_atomic_add_u64 v[0:1], v[2:3], off offset:8 scope:SCOPE_SYS
.LBB10_245:
	s_wait_xcnt 0x0
	s_or_b32 exec_lo, exec_lo, s7
	s_wait_loadcnt 0x0
	global_load_b64 v[2:3], v[0:1], off offset:16
	s_wait_loadcnt 0x0
	v_cmp_eq_u64_e32 vcc_lo, 0, v[2:3]
	s_cbranch_vccnz .LBB10_247
; %bb.246:
	global_load_b32 v0, v[0:1], off offset:24
	s_wait_xcnt 0x0
	v_mov_b32_e32 v1, 0
	s_wait_loadcnt 0x0
	v_readfirstlane_b32 s7, v0
	global_wb scope:SCOPE_SYS
	s_wait_storecnt 0x0
	global_store_b64 v[2:3], v[0:1], off scope:SCOPE_SYS
	s_and_b32 m0, s7, 0xffffff
	s_sendmsg sendmsg(MSG_INTERRUPT)
.LBB10_247:
	s_wait_xcnt 0x0
	s_or_b32 exec_lo, exec_lo, s1
	v_add_nc_u64_e32 v[0:1], v[14:15], v[34:35]
	s_branch .LBB10_251
.LBB10_248:                             ;   in Loop: Header=BB10_251 Depth=1
	s_wait_xcnt 0x0
	s_or_b32 exec_lo, exec_lo, s1
	s_delay_alu instid0(VALU_DEP_1)
	v_readfirstlane_b32 s1, v2
	s_cmp_eq_u32 s1, 0
	s_cbranch_scc1 .LBB10_250
; %bb.249:                              ;   in Loop: Header=BB10_251 Depth=1
	s_sleep 1
	s_cbranch_execnz .LBB10_251
	s_branch .LBB10_253
.LBB10_250:
	s_branch .LBB10_253
.LBB10_251:                             ; =>This Inner Loop Header: Depth=1
	v_mov_b32_e32 v2, 1
	s_and_saveexec_b32 s1, s0
	s_cbranch_execz .LBB10_248
; %bb.252:                              ;   in Loop: Header=BB10_251 Depth=1
	global_load_b32 v2, v[12:13], off offset:20 scope:SCOPE_SYS
	s_wait_loadcnt 0x0
	global_inv scope:SCOPE_SYS
	v_and_b32_e32 v2, 1, v2
	s_branch .LBB10_248
.LBB10_253:
	global_load_b64 v[8:9], v[0:1], off
	s_wait_xcnt 0x0
	s_and_saveexec_b32 s7, s0
	s_cbranch_execz .LBB10_257
; %bb.254:
	v_mov_b32_e32 v5, 0
	s_clause 0x2
	global_load_b64 v[0:1], v5, s[2:3] offset:40
	global_load_b64 v[14:15], v5, s[2:3] offset:24 scope:SCOPE_SYS
	global_load_b64 v[2:3], v5, s[2:3]
	s_wait_loadcnt 0x2
	v_readfirstlane_b32 s10, v0
	v_readfirstlane_b32 s11, v1
	s_add_nc_u64 s[0:1], s[10:11], 1
	s_delay_alu instid0(SALU_CYCLE_1) | instskip(NEXT) | instid1(SALU_CYCLE_1)
	s_add_nc_u64 s[4:5], s[0:1], s[4:5]
	s_cmp_eq_u64 s[4:5], 0
	s_cselect_b32 s1, s1, s5
	s_cselect_b32 s0, s0, s4
	v_mov_b32_e32 v13, s1
	s_and_b64 s[4:5], s[0:1], s[10:11]
	v_mov_b32_e32 v12, s0
	s_mul_u64 s[4:5], s[4:5], 24
	s_wait_loadcnt 0x0
	v_add_nc_u64_e32 v[10:11], s[4:5], v[2:3]
	global_store_b64 v[10:11], v[14:15], off
	global_wb scope:SCOPE_SYS
	s_wait_storecnt 0x0
	s_wait_xcnt 0x0
	global_atomic_cmpswap_b64 v[2:3], v5, v[12:15], s[2:3] offset:24 th:TH_ATOMIC_RETURN scope:SCOPE_SYS
	s_wait_loadcnt 0x0
	v_cmp_ne_u64_e32 vcc_lo, v[2:3], v[14:15]
	s_and_b32 exec_lo, exec_lo, vcc_lo
	s_cbranch_execz .LBB10_257
; %bb.255:
	s_mov_b32 s4, 0
.LBB10_256:                             ; =>This Inner Loop Header: Depth=1
	v_dual_mov_b32 v0, s0 :: v_dual_mov_b32 v1, s1
	s_sleep 1
	global_store_b64 v[10:11], v[2:3], off
	global_wb scope:SCOPE_SYS
	s_wait_storecnt 0x0
	s_wait_xcnt 0x0
	global_atomic_cmpswap_b64 v[0:1], v5, v[0:3], s[2:3] offset:24 th:TH_ATOMIC_RETURN scope:SCOPE_SYS
	s_wait_loadcnt 0x0
	v_cmp_eq_u64_e32 vcc_lo, v[0:1], v[2:3]
	v_mov_b64_e32 v[2:3], v[0:1]
	s_or_b32 s4, vcc_lo, s4
	s_delay_alu instid0(SALU_CYCLE_1)
	s_and_not1_b32 exec_lo, exec_lo, s4
	s_cbranch_execnz .LBB10_256
.LBB10_257:
	s_or_b32 exec_lo, exec_lo, s7
.LBB10_258:
	s_delay_alu instid0(SALU_CYCLE_1) | instskip(SKIP_2) | instid1(VALU_DEP_2)
	s_or_b32 exec_lo, exec_lo, s6
	v_readfirstlane_b32 s0, v54
	v_mov_b64_e32 v[10:11], 0
	v_cmp_eq_u32_e64 s0, s0, v54
	s_and_saveexec_b32 s1, s0
	s_cbranch_execz .LBB10_264
; %bb.259:
	v_mov_b32_e32 v0, 0
	s_mov_b32 s4, exec_lo
	global_load_b64 v[12:13], v0, s[2:3] offset:24 scope:SCOPE_SYS
	s_wait_loadcnt 0x0
	global_inv scope:SCOPE_SYS
	s_clause 0x1
	global_load_b64 v[2:3], v0, s[2:3] offset:40
	global_load_b64 v[10:11], v0, s[2:3]
	s_wait_loadcnt 0x1
	v_and_b32_e32 v2, v2, v12
	v_and_b32_e32 v3, v3, v13
	s_delay_alu instid0(VALU_DEP_1) | instskip(SKIP_1) | instid1(VALU_DEP_1)
	v_mul_u64_e32 v[2:3], 24, v[2:3]
	s_wait_loadcnt 0x0
	v_add_nc_u64_e32 v[2:3], v[10:11], v[2:3]
	global_load_b64 v[10:11], v[2:3], off scope:SCOPE_SYS
	s_wait_xcnt 0x0
	s_wait_loadcnt 0x0
	global_atomic_cmpswap_b64 v[10:11], v0, v[10:13], s[2:3] offset:24 th:TH_ATOMIC_RETURN scope:SCOPE_SYS
	s_wait_loadcnt 0x0
	global_inv scope:SCOPE_SYS
	s_wait_xcnt 0x0
	v_cmpx_ne_u64_e64 v[10:11], v[12:13]
	s_cbranch_execz .LBB10_263
; %bb.260:
	s_mov_b32 s5, 0
.LBB10_261:                             ; =>This Inner Loop Header: Depth=1
	s_sleep 1
	s_clause 0x1
	global_load_b64 v[2:3], v0, s[2:3] offset:40
	global_load_b64 v[14:15], v0, s[2:3]
	v_mov_b64_e32 v[12:13], v[10:11]
	s_wait_loadcnt 0x1
	s_delay_alu instid0(VALU_DEP_1) | instskip(SKIP_1) | instid1(VALU_DEP_1)
	v_and_b32_e32 v1, v2, v12
	s_wait_loadcnt 0x0
	v_mad_nc_u64_u32 v[10:11], v1, 24, v[14:15]
	s_delay_alu instid0(VALU_DEP_3) | instskip(NEXT) | instid1(VALU_DEP_1)
	v_and_b32_e32 v1, v3, v13
	v_mad_u32 v11, v1, 24, v11
	global_load_b64 v[10:11], v[10:11], off scope:SCOPE_SYS
	s_wait_xcnt 0x0
	s_wait_loadcnt 0x0
	global_atomic_cmpswap_b64 v[10:11], v0, v[10:13], s[2:3] offset:24 th:TH_ATOMIC_RETURN scope:SCOPE_SYS
	s_wait_loadcnt 0x0
	global_inv scope:SCOPE_SYS
	v_cmp_eq_u64_e32 vcc_lo, v[10:11], v[12:13]
	s_or_b32 s5, vcc_lo, s5
	s_wait_xcnt 0x0
	s_and_not1_b32 exec_lo, exec_lo, s5
	s_cbranch_execnz .LBB10_261
; %bb.262:
	s_or_b32 exec_lo, exec_lo, s5
.LBB10_263:
	s_delay_alu instid0(SALU_CYCLE_1)
	s_or_b32 exec_lo, exec_lo, s4
.LBB10_264:
	s_delay_alu instid0(SALU_CYCLE_1)
	s_or_b32 exec_lo, exec_lo, s1
	v_readfirstlane_b32 s4, v10
	v_mov_b32_e32 v35, 0
	v_readfirstlane_b32 s5, v11
	s_mov_b32 s1, exec_lo
	s_clause 0x1
	global_load_b64 v[12:13], v35, s[2:3] offset:40
	global_load_b128 v[0:3], v35, s[2:3]
	s_wait_loadcnt 0x1
	v_and_b32_e32 v10, s4, v12
	v_and_b32_e32 v11, s5, v13
	s_delay_alu instid0(VALU_DEP_1) | instskip(SKIP_1) | instid1(VALU_DEP_1)
	v_mul_u64_e32 v[12:13], 24, v[10:11]
	s_wait_loadcnt 0x0
	v_add_nc_u64_e32 v[12:13], v[0:1], v[12:13]
	s_wait_xcnt 0x0
	s_and_saveexec_b32 s6, s0
	s_cbranch_execz .LBB10_266
; %bb.265:
	v_mov_b64_e32 v[16:17], 0x100000002
	v_dual_mov_b32 v14, s1 :: v_dual_mov_b32 v15, v35
	global_store_b128 v[12:13], v[14:17], off offset:8
.LBB10_266:
	s_wait_xcnt 0x0
	s_or_b32 exec_lo, exec_lo, s6
	v_lshlrev_b64_e32 v[10:11], 12, v[10:11]
	s_mov_b32 s12, 0
	v_and_or_b32 v8, 0xffffff1f, v8, 32
	s_mov_b32 s13, s12
	s_mov_b32 s14, s12
	;; [unrolled: 1-line block ×3, first 2 shown]
	s_delay_alu instid0(VALU_DEP_2) | instskip(SKIP_3) | instid1(VALU_DEP_4)
	v_add_nc_u64_e32 v[14:15], v[2:3], v[10:11]
	v_dual_mov_b32 v10, v4 :: v_dual_mov_b32 v11, v35
	v_mov_b64_e32 v[2:3], s[12:13]
	v_mov_b64_e32 v[4:5], s[14:15]
	v_readfirstlane_b32 s6, v14
	v_readfirstlane_b32 s7, v15
	s_clause 0x3
	global_store_b128 v34, v[8:11], s[6:7]
	global_store_b128 v34, v[2:5], s[6:7] offset:16
	global_store_b128 v34, v[2:5], s[6:7] offset:32
	;; [unrolled: 1-line block ×3, first 2 shown]
	s_wait_xcnt 0x0
	s_and_saveexec_b32 s1, s0
	s_cbranch_execz .LBB10_274
; %bb.267:
	v_dual_mov_b32 v8, 0 :: v_dual_mov_b32 v17, s5
	s_mov_b32 s6, exec_lo
	s_clause 0x1
	global_load_b64 v[18:19], v8, s[2:3] offset:32 scope:SCOPE_SYS
	global_load_b64 v[2:3], v8, s[2:3] offset:40
	s_wait_loadcnt 0x0
	v_dual_mov_b32 v16, s4 :: v_dual_bitop2_b32 v3, s5, v3 bitop3:0x40
	v_and_b32_e32 v2, s4, v2
	s_delay_alu instid0(VALU_DEP_1) | instskip(NEXT) | instid1(VALU_DEP_1)
	v_mul_u64_e32 v[2:3], 24, v[2:3]
	v_add_nc_u64_e32 v[4:5], v[0:1], v[2:3]
	global_store_b64 v[4:5], v[18:19], off
	global_wb scope:SCOPE_SYS
	s_wait_storecnt 0x0
	s_wait_xcnt 0x0
	global_atomic_cmpswap_b64 v[2:3], v8, v[16:19], s[2:3] offset:32 th:TH_ATOMIC_RETURN scope:SCOPE_SYS
	s_wait_loadcnt 0x0
	v_cmpx_ne_u64_e64 v[2:3], v[18:19]
	s_cbranch_execz .LBB10_270
; %bb.268:
	s_mov_b32 s7, 0
.LBB10_269:                             ; =>This Inner Loop Header: Depth=1
	v_dual_mov_b32 v0, s4 :: v_dual_mov_b32 v1, s5
	s_sleep 1
	global_store_b64 v[4:5], v[2:3], off
	global_wb scope:SCOPE_SYS
	s_wait_storecnt 0x0
	s_wait_xcnt 0x0
	global_atomic_cmpswap_b64 v[0:1], v8, v[0:3], s[2:3] offset:32 th:TH_ATOMIC_RETURN scope:SCOPE_SYS
	s_wait_loadcnt 0x0
	v_cmp_eq_u64_e32 vcc_lo, v[0:1], v[2:3]
	v_mov_b64_e32 v[2:3], v[0:1]
	s_or_b32 s7, vcc_lo, s7
	s_delay_alu instid0(SALU_CYCLE_1)
	s_and_not1_b32 exec_lo, exec_lo, s7
	s_cbranch_execnz .LBB10_269
.LBB10_270:
	s_or_b32 exec_lo, exec_lo, s6
	v_mov_b32_e32 v3, 0
	s_mov_b32 s7, exec_lo
	s_mov_b32 s6, exec_lo
	v_mbcnt_lo_u32_b32 v2, s7, 0
	global_load_b64 v[0:1], v3, s[2:3] offset:16
	s_wait_xcnt 0x0
	v_cmpx_eq_u32_e32 0, v2
	s_cbranch_execz .LBB10_272
; %bb.271:
	s_bcnt1_i32_b32 s7, s7
	s_delay_alu instid0(SALU_CYCLE_1)
	v_mov_b32_e32 v2, s7
	global_wb scope:SCOPE_SYS
	s_wait_loadcnt 0x0
	s_wait_storecnt 0x0
	global_atomic_add_u64 v[0:1], v[2:3], off offset:8 scope:SCOPE_SYS
.LBB10_272:
	s_wait_xcnt 0x0
	s_or_b32 exec_lo, exec_lo, s6
	s_wait_loadcnt 0x0
	global_load_b64 v[2:3], v[0:1], off offset:16
	s_wait_loadcnt 0x0
	v_cmp_eq_u64_e32 vcc_lo, 0, v[2:3]
	s_cbranch_vccnz .LBB10_274
; %bb.273:
	global_load_b32 v0, v[0:1], off offset:24
	s_wait_xcnt 0x0
	v_mov_b32_e32 v1, 0
	s_wait_loadcnt 0x0
	v_readfirstlane_b32 s6, v0
	global_wb scope:SCOPE_SYS
	s_wait_storecnt 0x0
	global_store_b64 v[2:3], v[0:1], off scope:SCOPE_SYS
	s_and_b32 m0, s6, 0xffffff
	s_sendmsg sendmsg(MSG_INTERRUPT)
.LBB10_274:
	s_wait_xcnt 0x0
	s_or_b32 exec_lo, exec_lo, s1
	v_add_nc_u64_e32 v[0:1], v[14:15], v[34:35]
	s_branch .LBB10_278
.LBB10_275:                             ;   in Loop: Header=BB10_278 Depth=1
	s_wait_xcnt 0x0
	s_or_b32 exec_lo, exec_lo, s1
	s_delay_alu instid0(VALU_DEP_1)
	v_readfirstlane_b32 s1, v2
	s_cmp_eq_u32 s1, 0
	s_cbranch_scc1 .LBB10_277
; %bb.276:                              ;   in Loop: Header=BB10_278 Depth=1
	s_sleep 1
	s_cbranch_execnz .LBB10_278
	s_branch .LBB10_280
.LBB10_277:
	s_branch .LBB10_280
.LBB10_278:                             ; =>This Inner Loop Header: Depth=1
	v_mov_b32_e32 v2, 1
	s_and_saveexec_b32 s1, s0
	s_cbranch_execz .LBB10_275
; %bb.279:                              ;   in Loop: Header=BB10_278 Depth=1
	global_load_b32 v2, v[12:13], off offset:20 scope:SCOPE_SYS
	s_wait_loadcnt 0x0
	global_inv scope:SCOPE_SYS
	v_and_b32_e32 v2, 1, v2
	s_branch .LBB10_275
.LBB10_280:
	global_load_b64 v[0:1], v[0:1], off
	s_wait_xcnt 0x0
	s_and_saveexec_b32 s6, s0
	s_cbranch_execz .LBB10_284
; %bb.281:
	v_mov_b32_e32 v10, 0
	s_clause 0x2
	global_load_b64 v[2:3], v10, s[2:3] offset:40
	global_load_b64 v[14:15], v10, s[2:3] offset:24 scope:SCOPE_SYS
	global_load_b64 v[4:5], v10, s[2:3]
	s_wait_loadcnt 0x2
	v_readfirstlane_b32 s10, v2
	v_readfirstlane_b32 s11, v3
	s_add_nc_u64 s[0:1], s[10:11], 1
	s_delay_alu instid0(SALU_CYCLE_1) | instskip(NEXT) | instid1(SALU_CYCLE_1)
	s_add_nc_u64 s[4:5], s[0:1], s[4:5]
	s_cmp_eq_u64 s[4:5], 0
	s_cselect_b32 s1, s1, s5
	s_cselect_b32 s0, s0, s4
	v_mov_b32_e32 v13, s1
	s_and_b64 s[4:5], s[0:1], s[10:11]
	v_mov_b32_e32 v12, s0
	s_mul_u64 s[4:5], s[4:5], 24
	s_wait_loadcnt 0x0
	v_add_nc_u64_e32 v[8:9], s[4:5], v[4:5]
	global_store_b64 v[8:9], v[14:15], off
	global_wb scope:SCOPE_SYS
	s_wait_storecnt 0x0
	s_wait_xcnt 0x0
	global_atomic_cmpswap_b64 v[4:5], v10, v[12:15], s[2:3] offset:24 th:TH_ATOMIC_RETURN scope:SCOPE_SYS
	s_wait_loadcnt 0x0
	v_cmp_ne_u64_e32 vcc_lo, v[4:5], v[14:15]
	s_and_b32 exec_lo, exec_lo, vcc_lo
	s_cbranch_execz .LBB10_284
; %bb.282:
	s_mov_b32 s4, 0
.LBB10_283:                             ; =>This Inner Loop Header: Depth=1
	v_dual_mov_b32 v2, s0 :: v_dual_mov_b32 v3, s1
	s_sleep 1
	global_store_b64 v[8:9], v[4:5], off
	global_wb scope:SCOPE_SYS
	s_wait_storecnt 0x0
	s_wait_xcnt 0x0
	global_atomic_cmpswap_b64 v[2:3], v10, v[2:5], s[2:3] offset:24 th:TH_ATOMIC_RETURN scope:SCOPE_SYS
	s_wait_loadcnt 0x0
	v_cmp_eq_u64_e32 vcc_lo, v[2:3], v[4:5]
	v_mov_b64_e32 v[4:5], v[2:3]
	s_or_b32 s4, vcc_lo, s4
	s_delay_alu instid0(SALU_CYCLE_1)
	s_and_not1_b32 exec_lo, exec_lo, s4
	s_cbranch_execnz .LBB10_283
.LBB10_284:
	s_or_b32 exec_lo, exec_lo, s6
	v_mov_b64_e32 v[2:3], v[36:37]
	s_mov_b32 s0, 0
.LBB10_285:                             ; =>This Inner Loop Header: Depth=1
	global_load_u8 v4, v[2:3], off
	s_wait_xcnt 0x0
	v_add_nc_u64_e32 v[2:3], 1, v[2:3]
	s_wait_loadcnt 0x0
	v_cmp_eq_u16_e32 vcc_lo, 0, v4
	s_or_b32 s0, vcc_lo, s0
	s_delay_alu instid0(SALU_CYCLE_1)
	s_and_not1_b32 exec_lo, exec_lo, s0
	s_cbranch_execnz .LBB10_285
; %bb.286:
	s_or_b32 exec_lo, exec_lo, s0
	s_delay_alu instid0(SALU_CYCLE_1)
	s_mov_b32 s0, exec_lo
	v_cmpx_ne_u64_e32 0, v[36:37]
	s_xor_b32 s6, exec_lo, s0
	s_cbranch_execz .LBB10_372
; %bb.287:
	v_dual_mov_b32 v35, 0 :: v_dual_sub_nc_u32 v28, v2, v36
	v_mov_b64_e32 v[10:11], 0x100000002
	v_and_b32_e32 v30, 2, v0
	v_and_b32_e32 v0, -3, v0
	s_delay_alu instid0(VALU_DEP_4)
	v_ashrrev_i32_e32 v29, 31, v28
	s_mov_b32 s10, 0
	s_mov_b32 s7, 0
	s_branch .LBB10_289
.LBB10_288:                             ;   in Loop: Header=BB10_289 Depth=1
	s_or_b32 exec_lo, exec_lo, s11
	v_sub_nc_u64_e32 v[28:29], v[28:29], v[32:33]
	v_add_nc_u64_e32 v[36:37], v[36:37], v[32:33]
	s_delay_alu instid0(VALU_DEP_2) | instskip(SKIP_1) | instid1(SALU_CYCLE_1)
	v_cmp_eq_u64_e32 vcc_lo, 0, v[28:29]
	s_or_b32 s7, vcc_lo, s7
	s_and_not1_b32 exec_lo, exec_lo, s7
	s_cbranch_execz .LBB10_371
.LBB10_289:                             ; =>This Loop Header: Depth=1
                                        ;     Child Loop BB10_292 Depth 2
                                        ;     Child Loop BB10_300 Depth 2
	;; [unrolled: 1-line block ×11, first 2 shown]
	s_delay_alu instid0(VALU_DEP_1) | instskip(NEXT) | instid1(VALU_DEP_3)
	v_min_u64 v[32:33], v[28:29], 56
	v_add_nc_u64_e32 v[8:9], 8, v[36:37]
	s_mov_b32 s0, exec_lo
	v_cmpx_gt_u64_e32 8, v[28:29]
	s_xor_b32 s4, exec_lo, s0
	s_cbranch_execz .LBB10_295
; %bb.290:                              ;   in Loop: Header=BB10_289 Depth=1
	v_mov_b64_e32 v[2:3], 0
	s_mov_b32 s5, exec_lo
	v_cmpx_ne_u64_e32 0, v[28:29]
	s_cbranch_execz .LBB10_294
; %bb.291:                              ;   in Loop: Header=BB10_289 Depth=1
	v_mov_b64_e32 v[2:3], 0
	v_mov_b64_e32 v[8:9], v[36:37]
	v_lshlrev_b32_e32 v4, 3, v32
	s_mov_b64 s[0:1], 0
	s_mov_b32 s11, 0
.LBB10_292:                             ;   Parent Loop BB10_289 Depth=1
                                        ; =>  This Inner Loop Header: Depth=2
	global_load_u8 v5, v[8:9], off
	v_mov_b32_e32 v13, s10
	s_wait_xcnt 0x0
	v_add_nc_u64_e32 v[8:9], 1, v[8:9]
	s_wait_loadcnt 0x0
	v_and_b32_e32 v12, 0xffff, v5
	s_delay_alu instid0(VALU_DEP_1) | instskip(SKIP_1) | instid1(SALU_CYCLE_1)
	v_lshlrev_b64_e32 v[12:13], s0, v[12:13]
	s_add_nc_u64 s[0:1], s[0:1], 8
	v_cmp_eq_u32_e32 vcc_lo, s0, v4
	s_delay_alu instid0(VALU_DEP_2) | instskip(NEXT) | instid1(VALU_DEP_3)
	v_or_b32_e32 v3, v13, v3
	v_or_b32_e32 v2, v12, v2
	s_or_b32 s11, vcc_lo, s11
	s_delay_alu instid0(SALU_CYCLE_1)
	s_and_not1_b32 exec_lo, exec_lo, s11
	s_cbranch_execnz .LBB10_292
; %bb.293:                              ;   in Loop: Header=BB10_289 Depth=1
	s_or_b32 exec_lo, exec_lo, s11
.LBB10_294:                             ;   in Loop: Header=BB10_289 Depth=1
	s_delay_alu instid0(SALU_CYCLE_1)
	s_or_b32 exec_lo, exec_lo, s5
	v_mov_b64_e32 v[8:9], v[36:37]
.LBB10_295:                             ;   in Loop: Header=BB10_289 Depth=1
	s_or_saveexec_b32 s0, s4
	v_mov_b32_e32 v14, 0
	s_xor_b32 exec_lo, exec_lo, s0
	s_cbranch_execz .LBB10_297
; %bb.296:                              ;   in Loop: Header=BB10_289 Depth=1
	global_load_b64 v[2:3], v[36:37], off
	v_add_nc_u32_e32 v14, -8, v32
.LBB10_297:                             ;   in Loop: Header=BB10_289 Depth=1
	s_wait_xcnt 0x0
	s_or_b32 exec_lo, exec_lo, s0
	v_add_nc_u64_e32 v[4:5], 8, v[8:9]
                                        ; implicit-def: $vgpr12_vgpr13
	s_mov_b32 s0, exec_lo
	v_cmpx_gt_u32_e32 8, v14
	s_xor_b32 s11, exec_lo, s0
	s_cbranch_execz .LBB10_303
; %bb.298:                              ;   in Loop: Header=BB10_289 Depth=1
	v_mov_b64_e32 v[12:13], 0
	s_mov_b32 s12, exec_lo
	v_cmpx_ne_u32_e32 0, v14
	s_cbranch_execz .LBB10_302
; %bb.299:                              ;   in Loop: Header=BB10_289 Depth=1
	v_mov_b64_e32 v[12:13], 0
	s_mov_b64 s[0:1], 0
	s_mov_b32 s13, 0
	s_mov_b64 s[4:5], 0
.LBB10_300:                             ;   Parent Loop BB10_289 Depth=1
                                        ; =>  This Inner Loop Header: Depth=2
	s_delay_alu instid0(SALU_CYCLE_1) | instskip(SKIP_1) | instid1(SALU_CYCLE_1)
	v_add_nc_u64_e32 v[4:5], s[4:5], v[8:9]
	s_add_nc_u64 s[4:5], s[4:5], 1
	v_cmp_eq_u32_e32 vcc_lo, s4, v14
	global_load_u8 v4, v[4:5], off
	s_wait_xcnt 0x0
	v_mov_b32_e32 v5, s10
	s_or_b32 s13, vcc_lo, s13
	s_wait_loadcnt 0x0
	v_and_b32_e32 v4, 0xffff, v4
	s_delay_alu instid0(VALU_DEP_1) | instskip(SKIP_1) | instid1(VALU_DEP_1)
	v_lshlrev_b64_e32 v[4:5], s0, v[4:5]
	s_add_nc_u64 s[0:1], s[0:1], 8
	v_or_b32_e32 v13, v5, v13
	s_delay_alu instid0(VALU_DEP_2)
	v_or_b32_e32 v12, v4, v12
	s_and_not1_b32 exec_lo, exec_lo, s13
	s_cbranch_execnz .LBB10_300
; %bb.301:                              ;   in Loop: Header=BB10_289 Depth=1
	s_or_b32 exec_lo, exec_lo, s13
.LBB10_302:                             ;   in Loop: Header=BB10_289 Depth=1
	s_delay_alu instid0(SALU_CYCLE_1)
	s_or_b32 exec_lo, exec_lo, s12
	v_mov_b64_e32 v[4:5], v[8:9]
                                        ; implicit-def: $vgpr14
.LBB10_303:                             ;   in Loop: Header=BB10_289 Depth=1
	s_or_saveexec_b32 s0, s11
	v_mov_b32_e32 v16, 0
	s_xor_b32 exec_lo, exec_lo, s0
	s_cbranch_execz .LBB10_305
; %bb.304:                              ;   in Loop: Header=BB10_289 Depth=1
	global_load_b64 v[12:13], v[8:9], off
	v_add_nc_u32_e32 v16, -8, v14
.LBB10_305:                             ;   in Loop: Header=BB10_289 Depth=1
	s_wait_xcnt 0x0
	s_or_b32 exec_lo, exec_lo, s0
	v_add_nc_u64_e32 v[8:9], 8, v[4:5]
	s_mov_b32 s0, exec_lo
	v_cmpx_gt_u32_e32 8, v16
	s_xor_b32 s11, exec_lo, s0
	s_cbranch_execz .LBB10_311
; %bb.306:                              ;   in Loop: Header=BB10_289 Depth=1
	v_mov_b64_e32 v[14:15], 0
	s_mov_b32 s12, exec_lo
	v_cmpx_ne_u32_e32 0, v16
	s_cbranch_execz .LBB10_310
; %bb.307:                              ;   in Loop: Header=BB10_289 Depth=1
	v_mov_b64_e32 v[14:15], 0
	s_mov_b64 s[0:1], 0
	s_mov_b32 s13, 0
	s_mov_b64 s[4:5], 0
.LBB10_308:                             ;   Parent Loop BB10_289 Depth=1
                                        ; =>  This Inner Loop Header: Depth=2
	s_delay_alu instid0(SALU_CYCLE_1) | instskip(SKIP_1) | instid1(SALU_CYCLE_1)
	v_add_nc_u64_e32 v[8:9], s[4:5], v[4:5]
	s_add_nc_u64 s[4:5], s[4:5], 1
	v_cmp_eq_u32_e32 vcc_lo, s4, v16
	global_load_u8 v8, v[8:9], off
	s_wait_xcnt 0x0
	v_mov_b32_e32 v9, s10
	s_or_b32 s13, vcc_lo, s13
	s_wait_loadcnt 0x0
	v_and_b32_e32 v8, 0xffff, v8
	s_delay_alu instid0(VALU_DEP_1) | instskip(SKIP_1) | instid1(VALU_DEP_1)
	v_lshlrev_b64_e32 v[8:9], s0, v[8:9]
	s_add_nc_u64 s[0:1], s[0:1], 8
	v_or_b32_e32 v15, v9, v15
	s_delay_alu instid0(VALU_DEP_2)
	v_or_b32_e32 v14, v8, v14
	s_and_not1_b32 exec_lo, exec_lo, s13
	s_cbranch_execnz .LBB10_308
; %bb.309:                              ;   in Loop: Header=BB10_289 Depth=1
	s_or_b32 exec_lo, exec_lo, s13
.LBB10_310:                             ;   in Loop: Header=BB10_289 Depth=1
	s_delay_alu instid0(SALU_CYCLE_1)
	s_or_b32 exec_lo, exec_lo, s12
	v_mov_b64_e32 v[8:9], v[4:5]
                                        ; implicit-def: $vgpr16
.LBB10_311:                             ;   in Loop: Header=BB10_289 Depth=1
	s_or_saveexec_b32 s0, s11
	v_mov_b32_e32 v18, 0
	s_xor_b32 exec_lo, exec_lo, s0
	s_cbranch_execz .LBB10_313
; %bb.312:                              ;   in Loop: Header=BB10_289 Depth=1
	global_load_b64 v[14:15], v[4:5], off
	v_add_nc_u32_e32 v18, -8, v16
.LBB10_313:                             ;   in Loop: Header=BB10_289 Depth=1
	s_wait_xcnt 0x0
	s_or_b32 exec_lo, exec_lo, s0
	v_add_nc_u64_e32 v[4:5], 8, v[8:9]
                                        ; implicit-def: $vgpr16_vgpr17
	s_mov_b32 s0, exec_lo
	v_cmpx_gt_u32_e32 8, v18
	s_xor_b32 s11, exec_lo, s0
	s_cbranch_execz .LBB10_319
; %bb.314:                              ;   in Loop: Header=BB10_289 Depth=1
	v_mov_b64_e32 v[16:17], 0
	s_mov_b32 s12, exec_lo
	v_cmpx_ne_u32_e32 0, v18
	s_cbranch_execz .LBB10_318
; %bb.315:                              ;   in Loop: Header=BB10_289 Depth=1
	v_mov_b64_e32 v[16:17], 0
	s_mov_b64 s[0:1], 0
	s_mov_b32 s13, 0
	s_mov_b64 s[4:5], 0
.LBB10_316:                             ;   Parent Loop BB10_289 Depth=1
                                        ; =>  This Inner Loop Header: Depth=2
	s_delay_alu instid0(SALU_CYCLE_1) | instskip(SKIP_1) | instid1(SALU_CYCLE_1)
	v_add_nc_u64_e32 v[4:5], s[4:5], v[8:9]
	s_add_nc_u64 s[4:5], s[4:5], 1
	v_cmp_eq_u32_e32 vcc_lo, s4, v18
	global_load_u8 v4, v[4:5], off
	s_wait_xcnt 0x0
	v_mov_b32_e32 v5, s10
	s_or_b32 s13, vcc_lo, s13
	s_wait_loadcnt 0x0
	v_and_b32_e32 v4, 0xffff, v4
	s_delay_alu instid0(VALU_DEP_1) | instskip(SKIP_1) | instid1(VALU_DEP_1)
	v_lshlrev_b64_e32 v[4:5], s0, v[4:5]
	s_add_nc_u64 s[0:1], s[0:1], 8
	v_or_b32_e32 v17, v5, v17
	s_delay_alu instid0(VALU_DEP_2)
	v_or_b32_e32 v16, v4, v16
	s_and_not1_b32 exec_lo, exec_lo, s13
	s_cbranch_execnz .LBB10_316
; %bb.317:                              ;   in Loop: Header=BB10_289 Depth=1
	s_or_b32 exec_lo, exec_lo, s13
.LBB10_318:                             ;   in Loop: Header=BB10_289 Depth=1
	s_delay_alu instid0(SALU_CYCLE_1)
	s_or_b32 exec_lo, exec_lo, s12
	v_mov_b64_e32 v[4:5], v[8:9]
                                        ; implicit-def: $vgpr18
.LBB10_319:                             ;   in Loop: Header=BB10_289 Depth=1
	s_or_saveexec_b32 s0, s11
	v_mov_b32_e32 v20, 0
	s_xor_b32 exec_lo, exec_lo, s0
	s_cbranch_execz .LBB10_321
; %bb.320:                              ;   in Loop: Header=BB10_289 Depth=1
	global_load_b64 v[16:17], v[8:9], off
	v_add_nc_u32_e32 v20, -8, v18
.LBB10_321:                             ;   in Loop: Header=BB10_289 Depth=1
	s_wait_xcnt 0x0
	s_or_b32 exec_lo, exec_lo, s0
	v_add_nc_u64_e32 v[8:9], 8, v[4:5]
	s_mov_b32 s0, exec_lo
	v_cmpx_gt_u32_e32 8, v20
	s_xor_b32 s11, exec_lo, s0
	s_cbranch_execz .LBB10_327
; %bb.322:                              ;   in Loop: Header=BB10_289 Depth=1
	v_mov_b64_e32 v[18:19], 0
	s_mov_b32 s12, exec_lo
	v_cmpx_ne_u32_e32 0, v20
	s_cbranch_execz .LBB10_326
; %bb.323:                              ;   in Loop: Header=BB10_289 Depth=1
	v_mov_b64_e32 v[18:19], 0
	s_mov_b64 s[0:1], 0
	s_mov_b32 s13, 0
	s_mov_b64 s[4:5], 0
.LBB10_324:                             ;   Parent Loop BB10_289 Depth=1
                                        ; =>  This Inner Loop Header: Depth=2
	s_delay_alu instid0(SALU_CYCLE_1) | instskip(SKIP_1) | instid1(SALU_CYCLE_1)
	v_add_nc_u64_e32 v[8:9], s[4:5], v[4:5]
	s_add_nc_u64 s[4:5], s[4:5], 1
	v_cmp_eq_u32_e32 vcc_lo, s4, v20
	global_load_u8 v8, v[8:9], off
	s_wait_xcnt 0x0
	v_mov_b32_e32 v9, s10
	s_or_b32 s13, vcc_lo, s13
	s_wait_loadcnt 0x0
	v_and_b32_e32 v8, 0xffff, v8
	s_delay_alu instid0(VALU_DEP_1) | instskip(SKIP_1) | instid1(VALU_DEP_1)
	v_lshlrev_b64_e32 v[8:9], s0, v[8:9]
	s_add_nc_u64 s[0:1], s[0:1], 8
	v_or_b32_e32 v19, v9, v19
	s_delay_alu instid0(VALU_DEP_2)
	v_or_b32_e32 v18, v8, v18
	s_and_not1_b32 exec_lo, exec_lo, s13
	s_cbranch_execnz .LBB10_324
; %bb.325:                              ;   in Loop: Header=BB10_289 Depth=1
	s_or_b32 exec_lo, exec_lo, s13
.LBB10_326:                             ;   in Loop: Header=BB10_289 Depth=1
	s_delay_alu instid0(SALU_CYCLE_1)
	s_or_b32 exec_lo, exec_lo, s12
	v_mov_b64_e32 v[8:9], v[4:5]
                                        ; implicit-def: $vgpr20
.LBB10_327:                             ;   in Loop: Header=BB10_289 Depth=1
	s_or_saveexec_b32 s0, s11
	v_mov_b32_e32 v22, 0
	s_xor_b32 exec_lo, exec_lo, s0
	s_cbranch_execz .LBB10_329
; %bb.328:                              ;   in Loop: Header=BB10_289 Depth=1
	global_load_b64 v[18:19], v[4:5], off
	v_add_nc_u32_e32 v22, -8, v20
.LBB10_329:                             ;   in Loop: Header=BB10_289 Depth=1
	s_wait_xcnt 0x0
	s_or_b32 exec_lo, exec_lo, s0
	v_add_nc_u64_e32 v[4:5], 8, v[8:9]
                                        ; implicit-def: $vgpr20_vgpr21
	s_mov_b32 s0, exec_lo
	v_cmpx_gt_u32_e32 8, v22
	s_xor_b32 s11, exec_lo, s0
	s_cbranch_execz .LBB10_335
; %bb.330:                              ;   in Loop: Header=BB10_289 Depth=1
	v_mov_b64_e32 v[20:21], 0
	s_mov_b32 s12, exec_lo
	v_cmpx_ne_u32_e32 0, v22
	s_cbranch_execz .LBB10_334
; %bb.331:                              ;   in Loop: Header=BB10_289 Depth=1
	v_mov_b64_e32 v[20:21], 0
	s_mov_b64 s[0:1], 0
	s_mov_b32 s13, 0
	s_mov_b64 s[4:5], 0
.LBB10_332:                             ;   Parent Loop BB10_289 Depth=1
                                        ; =>  This Inner Loop Header: Depth=2
	s_delay_alu instid0(SALU_CYCLE_1) | instskip(SKIP_1) | instid1(SALU_CYCLE_1)
	v_add_nc_u64_e32 v[4:5], s[4:5], v[8:9]
	s_add_nc_u64 s[4:5], s[4:5], 1
	v_cmp_eq_u32_e32 vcc_lo, s4, v22
	global_load_u8 v4, v[4:5], off
	s_wait_xcnt 0x0
	v_mov_b32_e32 v5, s10
	s_or_b32 s13, vcc_lo, s13
	s_wait_loadcnt 0x0
	v_and_b32_e32 v4, 0xffff, v4
	s_delay_alu instid0(VALU_DEP_1) | instskip(SKIP_1) | instid1(VALU_DEP_1)
	v_lshlrev_b64_e32 v[4:5], s0, v[4:5]
	s_add_nc_u64 s[0:1], s[0:1], 8
	v_or_b32_e32 v21, v5, v21
	s_delay_alu instid0(VALU_DEP_2)
	v_or_b32_e32 v20, v4, v20
	s_and_not1_b32 exec_lo, exec_lo, s13
	s_cbranch_execnz .LBB10_332
; %bb.333:                              ;   in Loop: Header=BB10_289 Depth=1
	s_or_b32 exec_lo, exec_lo, s13
.LBB10_334:                             ;   in Loop: Header=BB10_289 Depth=1
	s_delay_alu instid0(SALU_CYCLE_1)
	s_or_b32 exec_lo, exec_lo, s12
	v_mov_b64_e32 v[4:5], v[8:9]
                                        ; implicit-def: $vgpr22
.LBB10_335:                             ;   in Loop: Header=BB10_289 Depth=1
	s_or_saveexec_b32 s0, s11
	v_mov_b32_e32 v24, 0
	s_xor_b32 exec_lo, exec_lo, s0
	s_cbranch_execz .LBB10_337
; %bb.336:                              ;   in Loop: Header=BB10_289 Depth=1
	global_load_b64 v[20:21], v[8:9], off
	v_add_nc_u32_e32 v24, -8, v22
.LBB10_337:                             ;   in Loop: Header=BB10_289 Depth=1
	s_wait_xcnt 0x0
	s_or_b32 exec_lo, exec_lo, s0
	s_delay_alu instid0(SALU_CYCLE_1) | instskip(NEXT) | instid1(VALU_DEP_1)
	s_mov_b32 s0, exec_lo
	v_cmpx_gt_u32_e32 8, v24
	s_xor_b32 s4, exec_lo, s0
	s_cbranch_execz .LBB10_343
; %bb.338:                              ;   in Loop: Header=BB10_289 Depth=1
	v_mov_b64_e32 v[22:23], 0
	s_mov_b32 s5, exec_lo
	v_cmpx_ne_u32_e32 0, v24
	s_cbranch_execz .LBB10_342
; %bb.339:                              ;   in Loop: Header=BB10_289 Depth=1
	v_mov_b64_e32 v[22:23], 0
	s_mov_b64 s[0:1], 0
	s_mov_b32 s11, 0
.LBB10_340:                             ;   Parent Loop BB10_289 Depth=1
                                        ; =>  This Inner Loop Header: Depth=2
	global_load_u8 v8, v[4:5], off
	v_dual_mov_b32 v9, s10 :: v_dual_add_nc_u32 v24, -1, v24
	s_wait_xcnt 0x0
	v_add_nc_u64_e32 v[4:5], 1, v[4:5]
	s_delay_alu instid0(VALU_DEP_2) | instskip(SKIP_3) | instid1(VALU_DEP_1)
	v_cmp_eq_u32_e32 vcc_lo, 0, v24
	s_or_b32 s11, vcc_lo, s11
	s_wait_loadcnt 0x0
	v_and_b32_e32 v8, 0xffff, v8
	v_lshlrev_b64_e32 v[8:9], s0, v[8:9]
	s_add_nc_u64 s[0:1], s[0:1], 8
	s_delay_alu instid0(VALU_DEP_1) | instskip(NEXT) | instid1(VALU_DEP_2)
	v_or_b32_e32 v23, v9, v23
	v_or_b32_e32 v22, v8, v22
	s_and_not1_b32 exec_lo, exec_lo, s11
	s_cbranch_execnz .LBB10_340
; %bb.341:                              ;   in Loop: Header=BB10_289 Depth=1
	s_or_b32 exec_lo, exec_lo, s11
.LBB10_342:                             ;   in Loop: Header=BB10_289 Depth=1
	s_delay_alu instid0(SALU_CYCLE_1)
	s_or_b32 exec_lo, exec_lo, s5
                                        ; implicit-def: $vgpr4_vgpr5
.LBB10_343:                             ;   in Loop: Header=BB10_289 Depth=1
	s_and_not1_saveexec_b32 s0, s4
	s_cbranch_execz .LBB10_345
; %bb.344:                              ;   in Loop: Header=BB10_289 Depth=1
	global_load_b64 v[22:23], v[4:5], off
.LBB10_345:                             ;   in Loop: Header=BB10_289 Depth=1
	s_wait_xcnt 0x0
	s_or_b32 exec_lo, exec_lo, s0
	v_readfirstlane_b32 s0, v54
	v_mov_b64_e32 v[4:5], 0
	s_delay_alu instid0(VALU_DEP_2)
	v_cmp_eq_u32_e64 s0, s0, v54
	s_and_saveexec_b32 s1, s0
	s_cbranch_execz .LBB10_351
; %bb.346:                              ;   in Loop: Header=BB10_289 Depth=1
	global_load_b64 v[26:27], v35, s[2:3] offset:24 scope:SCOPE_SYS
	s_wait_loadcnt 0x0
	global_inv scope:SCOPE_SYS
	s_clause 0x1
	global_load_b64 v[4:5], v35, s[2:3] offset:40
	global_load_b64 v[8:9], v35, s[2:3]
	s_mov_b32 s4, exec_lo
	s_wait_loadcnt 0x1
	v_and_b32_e32 v4, v4, v26
	v_and_b32_e32 v5, v5, v27
	s_delay_alu instid0(VALU_DEP_1) | instskip(SKIP_1) | instid1(VALU_DEP_1)
	v_mul_u64_e32 v[4:5], 24, v[4:5]
	s_wait_loadcnt 0x0
	v_add_nc_u64_e32 v[4:5], v[8:9], v[4:5]
	global_load_b64 v[24:25], v[4:5], off scope:SCOPE_SYS
	s_wait_xcnt 0x0
	s_wait_loadcnt 0x0
	global_atomic_cmpswap_b64 v[4:5], v35, v[24:27], s[2:3] offset:24 th:TH_ATOMIC_RETURN scope:SCOPE_SYS
	s_wait_loadcnt 0x0
	global_inv scope:SCOPE_SYS
	s_wait_xcnt 0x0
	v_cmpx_ne_u64_e64 v[4:5], v[26:27]
	s_cbranch_execz .LBB10_350
; %bb.347:                              ;   in Loop: Header=BB10_289 Depth=1
	s_mov_b32 s5, 0
.LBB10_348:                             ;   Parent Loop BB10_289 Depth=1
                                        ; =>  This Inner Loop Header: Depth=2
	s_sleep 1
	s_clause 0x1
	global_load_b64 v[8:9], v35, s[2:3] offset:40
	global_load_b64 v[24:25], v35, s[2:3]
	v_mov_b64_e32 v[26:27], v[4:5]
	s_wait_loadcnt 0x1
	s_delay_alu instid0(VALU_DEP_1) | instskip(NEXT) | instid1(VALU_DEP_2)
	v_and_b32_e32 v4, v8, v26
	v_and_b32_e32 v8, v9, v27
	s_wait_loadcnt 0x0
	s_delay_alu instid0(VALU_DEP_2) | instskip(NEXT) | instid1(VALU_DEP_1)
	v_mad_nc_u64_u32 v[4:5], v4, 24, v[24:25]
	v_mad_u32 v5, v8, 24, v5
	global_load_b64 v[24:25], v[4:5], off scope:SCOPE_SYS
	s_wait_xcnt 0x0
	s_wait_loadcnt 0x0
	global_atomic_cmpswap_b64 v[4:5], v35, v[24:27], s[2:3] offset:24 th:TH_ATOMIC_RETURN scope:SCOPE_SYS
	s_wait_loadcnt 0x0
	global_inv scope:SCOPE_SYS
	v_cmp_eq_u64_e32 vcc_lo, v[4:5], v[26:27]
	s_or_b32 s5, vcc_lo, s5
	s_wait_xcnt 0x0
	s_and_not1_b32 exec_lo, exec_lo, s5
	s_cbranch_execnz .LBB10_348
; %bb.349:                              ;   in Loop: Header=BB10_289 Depth=1
	s_or_b32 exec_lo, exec_lo, s5
.LBB10_350:                             ;   in Loop: Header=BB10_289 Depth=1
	s_delay_alu instid0(SALU_CYCLE_1)
	s_or_b32 exec_lo, exec_lo, s4
.LBB10_351:                             ;   in Loop: Header=BB10_289 Depth=1
	s_delay_alu instid0(SALU_CYCLE_1)
	s_or_b32 exec_lo, exec_lo, s1
	s_clause 0x1
	global_load_b64 v[8:9], v35, s[2:3] offset:40
	global_load_b128 v[24:27], v35, s[2:3]
	v_readfirstlane_b32 s4, v4
	v_readfirstlane_b32 s5, v5
	s_mov_b32 s1, exec_lo
	s_wait_loadcnt 0x1
	v_and_b32_e32 v38, s4, v8
	v_and_b32_e32 v39, s5, v9
	s_delay_alu instid0(VALU_DEP_1) | instskip(SKIP_1) | instid1(VALU_DEP_1)
	v_mul_u64_e32 v[4:5], 24, v[38:39]
	s_wait_loadcnt 0x0
	v_add_nc_u64_e32 v[4:5], v[24:25], v[4:5]
	s_wait_xcnt 0x0
	s_and_saveexec_b32 s11, s0
	s_cbranch_execz .LBB10_353
; %bb.352:                              ;   in Loop: Header=BB10_289 Depth=1
	v_dual_mov_b32 v8, s1 :: v_dual_mov_b32 v9, v35
	global_store_b128 v[4:5], v[8:11], off offset:8
.LBB10_353:                             ;   in Loop: Header=BB10_289 Depth=1
	s_wait_xcnt 0x0
	s_or_b32 exec_lo, exec_lo, s11
	v_cmp_gt_u64_e32 vcc_lo, 57, v[28:29]
	v_lshlrev_b64_e32 v[8:9], 12, v[38:39]
	v_and_b32_e32 v0, 0xffffff1f, v0
	v_lshl_add_u32 v38, v32, 2, 28
	v_cndmask_b32_e32 v31, 0, v30, vcc_lo
	s_delay_alu instid0(VALU_DEP_4) | instskip(NEXT) | instid1(VALU_DEP_2)
	v_add_nc_u64_e32 v[8:9], v[26:27], v[8:9]
	v_or_b32_e32 v0, v0, v31
	s_delay_alu instid0(VALU_DEP_2) | instskip(NEXT) | instid1(VALU_DEP_3)
	v_readfirstlane_b32 s12, v8
	v_readfirstlane_b32 s13, v9
	s_delay_alu instid0(VALU_DEP_3)
	v_and_or_b32 v0, 0x1e0, v38, v0
	s_clause 0x3
	global_store_b128 v34, v[0:3], s[12:13]
	global_store_b128 v34, v[12:15], s[12:13] offset:16
	global_store_b128 v34, v[16:19], s[12:13] offset:32
	;; [unrolled: 1-line block ×3, first 2 shown]
	s_wait_xcnt 0x0
	s_and_saveexec_b32 s1, s0
	s_cbranch_execz .LBB10_361
; %bb.354:                              ;   in Loop: Header=BB10_289 Depth=1
	s_clause 0x1
	global_load_b64 v[16:17], v35, s[2:3] offset:32 scope:SCOPE_SYS
	global_load_b64 v[0:1], v35, s[2:3] offset:40
	s_mov_b32 s11, exec_lo
	v_dual_mov_b32 v14, s4 :: v_dual_mov_b32 v15, s5
	s_wait_loadcnt 0x0
	v_and_b32_e32 v1, s5, v1
	v_and_b32_e32 v0, s4, v0
	s_delay_alu instid0(VALU_DEP_1) | instskip(NEXT) | instid1(VALU_DEP_1)
	v_mul_u64_e32 v[0:1], 24, v[0:1]
	v_add_nc_u64_e32 v[12:13], v[24:25], v[0:1]
	global_store_b64 v[12:13], v[16:17], off
	global_wb scope:SCOPE_SYS
	s_wait_storecnt 0x0
	s_wait_xcnt 0x0
	global_atomic_cmpswap_b64 v[2:3], v35, v[14:17], s[2:3] offset:32 th:TH_ATOMIC_RETURN scope:SCOPE_SYS
	s_wait_loadcnt 0x0
	v_cmpx_ne_u64_e64 v[2:3], v[16:17]
	s_cbranch_execz .LBB10_357
; %bb.355:                              ;   in Loop: Header=BB10_289 Depth=1
	s_mov_b32 s12, 0
.LBB10_356:                             ;   Parent Loop BB10_289 Depth=1
                                        ; =>  This Inner Loop Header: Depth=2
	v_dual_mov_b32 v0, s4 :: v_dual_mov_b32 v1, s5
	s_sleep 1
	global_store_b64 v[12:13], v[2:3], off
	global_wb scope:SCOPE_SYS
	s_wait_storecnt 0x0
	s_wait_xcnt 0x0
	global_atomic_cmpswap_b64 v[0:1], v35, v[0:3], s[2:3] offset:32 th:TH_ATOMIC_RETURN scope:SCOPE_SYS
	s_wait_loadcnt 0x0
	v_cmp_eq_u64_e32 vcc_lo, v[0:1], v[2:3]
	v_mov_b64_e32 v[2:3], v[0:1]
	s_or_b32 s12, vcc_lo, s12
	s_delay_alu instid0(SALU_CYCLE_1)
	s_and_not1_b32 exec_lo, exec_lo, s12
	s_cbranch_execnz .LBB10_356
.LBB10_357:                             ;   in Loop: Header=BB10_289 Depth=1
	s_or_b32 exec_lo, exec_lo, s11
	global_load_b64 v[0:1], v35, s[2:3] offset:16
	s_mov_b32 s12, exec_lo
	s_mov_b32 s11, exec_lo
	v_mbcnt_lo_u32_b32 v2, s12, 0
	s_wait_xcnt 0x0
	s_delay_alu instid0(VALU_DEP_1)
	v_cmpx_eq_u32_e32 0, v2
	s_cbranch_execz .LBB10_359
; %bb.358:                              ;   in Loop: Header=BB10_289 Depth=1
	s_bcnt1_i32_b32 s12, s12
	s_delay_alu instid0(SALU_CYCLE_1)
	v_dual_mov_b32 v3, v35 :: v_dual_mov_b32 v2, s12
	global_wb scope:SCOPE_SYS
	s_wait_loadcnt 0x0
	s_wait_storecnt 0x0
	global_atomic_add_u64 v[0:1], v[2:3], off offset:8 scope:SCOPE_SYS
.LBB10_359:                             ;   in Loop: Header=BB10_289 Depth=1
	s_wait_xcnt 0x0
	s_or_b32 exec_lo, exec_lo, s11
	s_wait_loadcnt 0x0
	global_load_b64 v[2:3], v[0:1], off offset:16
	s_wait_loadcnt 0x0
	v_cmp_eq_u64_e32 vcc_lo, 0, v[2:3]
	s_cbranch_vccnz .LBB10_361
; %bb.360:                              ;   in Loop: Header=BB10_289 Depth=1
	global_load_b32 v0, v[0:1], off offset:24
	s_wait_xcnt 0x0
	v_mov_b32_e32 v1, v35
	s_wait_loadcnt 0x0
	v_readfirstlane_b32 s11, v0
	global_wb scope:SCOPE_SYS
	s_wait_storecnt 0x0
	global_store_b64 v[2:3], v[0:1], off scope:SCOPE_SYS
	s_and_b32 m0, s11, 0xffffff
	s_sendmsg sendmsg(MSG_INTERRUPT)
.LBB10_361:                             ;   in Loop: Header=BB10_289 Depth=1
	s_wait_xcnt 0x0
	s_or_b32 exec_lo, exec_lo, s1
	v_add_nc_u64_e32 v[0:1], v[8:9], v[34:35]
	s_branch .LBB10_365
.LBB10_362:                             ;   in Loop: Header=BB10_365 Depth=2
	s_wait_xcnt 0x0
	s_or_b32 exec_lo, exec_lo, s1
	s_delay_alu instid0(VALU_DEP_1)
	v_readfirstlane_b32 s1, v2
	s_cmp_eq_u32 s1, 0
	s_cbranch_scc1 .LBB10_364
; %bb.363:                              ;   in Loop: Header=BB10_365 Depth=2
	s_sleep 1
	s_cbranch_execnz .LBB10_365
	s_branch .LBB10_367
.LBB10_364:                             ;   in Loop: Header=BB10_289 Depth=1
	s_branch .LBB10_367
.LBB10_365:                             ;   Parent Loop BB10_289 Depth=1
                                        ; =>  This Inner Loop Header: Depth=2
	v_mov_b32_e32 v2, 1
	s_and_saveexec_b32 s1, s0
	s_cbranch_execz .LBB10_362
; %bb.366:                              ;   in Loop: Header=BB10_365 Depth=2
	global_load_b32 v2, v[4:5], off offset:20 scope:SCOPE_SYS
	s_wait_loadcnt 0x0
	global_inv scope:SCOPE_SYS
	v_and_b32_e32 v2, 1, v2
	s_branch .LBB10_362
.LBB10_367:                             ;   in Loop: Header=BB10_289 Depth=1
	global_load_b64 v[0:1], v[0:1], off
	s_wait_xcnt 0x0
	s_and_saveexec_b32 s11, s0
	s_cbranch_execz .LBB10_288
; %bb.368:                              ;   in Loop: Header=BB10_289 Depth=1
	s_clause 0x2
	global_load_b64 v[2:3], v35, s[2:3] offset:40
	global_load_b64 v[14:15], v35, s[2:3] offset:24 scope:SCOPE_SYS
	global_load_b64 v[4:5], v35, s[2:3]
	s_wait_loadcnt 0x2
	v_readfirstlane_b32 s12, v2
	v_readfirstlane_b32 s13, v3
	s_add_nc_u64 s[0:1], s[12:13], 1
	s_delay_alu instid0(SALU_CYCLE_1) | instskip(NEXT) | instid1(SALU_CYCLE_1)
	s_add_nc_u64 s[4:5], s[0:1], s[4:5]
	s_cmp_eq_u64 s[4:5], 0
	s_cselect_b32 s1, s1, s5
	s_cselect_b32 s0, s0, s4
	s_delay_alu instid0(SALU_CYCLE_1) | instskip(SKIP_1) | instid1(SALU_CYCLE_1)
	v_dual_mov_b32 v13, s1 :: v_dual_mov_b32 v12, s0
	s_and_b64 s[4:5], s[0:1], s[12:13]
	s_mul_u64 s[4:5], s[4:5], 24
	s_wait_loadcnt 0x0
	v_add_nc_u64_e32 v[8:9], s[4:5], v[4:5]
	global_store_b64 v[8:9], v[14:15], off
	global_wb scope:SCOPE_SYS
	s_wait_storecnt 0x0
	s_wait_xcnt 0x0
	global_atomic_cmpswap_b64 v[4:5], v35, v[12:15], s[2:3] offset:24 th:TH_ATOMIC_RETURN scope:SCOPE_SYS
	s_wait_loadcnt 0x0
	v_cmp_ne_u64_e32 vcc_lo, v[4:5], v[14:15]
	s_and_b32 exec_lo, exec_lo, vcc_lo
	s_cbranch_execz .LBB10_288
; %bb.369:                              ;   in Loop: Header=BB10_289 Depth=1
	s_mov_b32 s4, 0
.LBB10_370:                             ;   Parent Loop BB10_289 Depth=1
                                        ; =>  This Inner Loop Header: Depth=2
	v_dual_mov_b32 v2, s0 :: v_dual_mov_b32 v3, s1
	s_sleep 1
	global_store_b64 v[8:9], v[4:5], off
	global_wb scope:SCOPE_SYS
	s_wait_storecnt 0x0
	s_wait_xcnt 0x0
	global_atomic_cmpswap_b64 v[2:3], v35, v[2:5], s[2:3] offset:24 th:TH_ATOMIC_RETURN scope:SCOPE_SYS
	s_wait_loadcnt 0x0
	v_cmp_eq_u64_e32 vcc_lo, v[2:3], v[4:5]
	v_mov_b64_e32 v[4:5], v[2:3]
	s_or_b32 s4, vcc_lo, s4
	s_delay_alu instid0(SALU_CYCLE_1)
	s_and_not1_b32 exec_lo, exec_lo, s4
	s_cbranch_execnz .LBB10_370
	s_branch .LBB10_288
.LBB10_371:
	s_or_b32 exec_lo, exec_lo, s7
                                        ; implicit-def: $vgpr34
                                        ; implicit-def: $vgpr54
.LBB10_372:
	s_and_not1_saveexec_b32 s6, s6
	s_cbranch_execz .LBB10_400
; %bb.373:
	v_readfirstlane_b32 s0, v54
	v_mov_b64_e32 v[2:3], 0
	s_delay_alu instid0(VALU_DEP_2)
	v_cmp_eq_u32_e64 s0, s0, v54
	s_and_saveexec_b32 s1, s0
	s_cbranch_execz .LBB10_379
; %bb.374:
	v_mov_b32_e32 v4, 0
	s_mov_b32 s4, exec_lo
	global_load_b64 v[10:11], v4, s[2:3] offset:24 scope:SCOPE_SYS
	s_wait_loadcnt 0x0
	global_inv scope:SCOPE_SYS
	s_clause 0x1
	global_load_b64 v[2:3], v4, s[2:3] offset:40
	global_load_b64 v[8:9], v4, s[2:3]
	s_wait_loadcnt 0x1
	v_and_b32_e32 v2, v2, v10
	v_and_b32_e32 v3, v3, v11
	s_delay_alu instid0(VALU_DEP_1) | instskip(SKIP_1) | instid1(VALU_DEP_1)
	v_mul_u64_e32 v[2:3], 24, v[2:3]
	s_wait_loadcnt 0x0
	v_add_nc_u64_e32 v[2:3], v[8:9], v[2:3]
	global_load_b64 v[8:9], v[2:3], off scope:SCOPE_SYS
	s_wait_xcnt 0x0
	s_wait_loadcnt 0x0
	global_atomic_cmpswap_b64 v[2:3], v4, v[8:11], s[2:3] offset:24 th:TH_ATOMIC_RETURN scope:SCOPE_SYS
	s_wait_loadcnt 0x0
	global_inv scope:SCOPE_SYS
	s_wait_xcnt 0x0
	v_cmpx_ne_u64_e64 v[2:3], v[10:11]
	s_cbranch_execz .LBB10_378
; %bb.375:
	s_mov_b32 s5, 0
.LBB10_376:                             ; =>This Inner Loop Header: Depth=1
	s_sleep 1
	s_clause 0x1
	global_load_b64 v[8:9], v4, s[2:3] offset:40
	global_load_b64 v[12:13], v4, s[2:3]
	v_mov_b64_e32 v[10:11], v[2:3]
	s_wait_loadcnt 0x1
	s_delay_alu instid0(VALU_DEP_1) | instskip(NEXT) | instid1(VALU_DEP_2)
	v_and_b32_e32 v2, v8, v10
	v_and_b32_e32 v5, v9, v11
	s_wait_loadcnt 0x0
	s_delay_alu instid0(VALU_DEP_2) | instskip(NEXT) | instid1(VALU_DEP_1)
	v_mad_nc_u64_u32 v[2:3], v2, 24, v[12:13]
	v_mad_u32 v3, v5, 24, v3
	global_load_b64 v[8:9], v[2:3], off scope:SCOPE_SYS
	s_wait_xcnt 0x0
	s_wait_loadcnt 0x0
	global_atomic_cmpswap_b64 v[2:3], v4, v[8:11], s[2:3] offset:24 th:TH_ATOMIC_RETURN scope:SCOPE_SYS
	s_wait_loadcnt 0x0
	global_inv scope:SCOPE_SYS
	v_cmp_eq_u64_e32 vcc_lo, v[2:3], v[10:11]
	s_or_b32 s5, vcc_lo, s5
	s_wait_xcnt 0x0
	s_and_not1_b32 exec_lo, exec_lo, s5
	s_cbranch_execnz .LBB10_376
; %bb.377:
	s_or_b32 exec_lo, exec_lo, s5
.LBB10_378:
	s_delay_alu instid0(SALU_CYCLE_1)
	s_or_b32 exec_lo, exec_lo, s4
.LBB10_379:
	s_delay_alu instid0(SALU_CYCLE_1)
	s_or_b32 exec_lo, exec_lo, s1
	v_readfirstlane_b32 s4, v2
	v_mov_b32_e32 v35, 0
	v_readfirstlane_b32 s5, v3
	s_mov_b32 s1, exec_lo
	s_clause 0x1
	global_load_b64 v[4:5], v35, s[2:3] offset:40
	global_load_b128 v[8:11], v35, s[2:3]
	s_wait_loadcnt 0x1
	v_and_b32_e32 v2, s4, v4
	v_and_b32_e32 v3, s5, v5
	s_delay_alu instid0(VALU_DEP_1) | instskip(SKIP_1) | instid1(VALU_DEP_1)
	v_mul_u64_e32 v[4:5], 24, v[2:3]
	s_wait_loadcnt 0x0
	v_add_nc_u64_e32 v[4:5], v[8:9], v[4:5]
	s_wait_xcnt 0x0
	s_and_saveexec_b32 s7, s0
	s_cbranch_execz .LBB10_381
; %bb.380:
	v_mov_b64_e32 v[14:15], 0x100000002
	v_dual_mov_b32 v12, s1 :: v_dual_mov_b32 v13, v35
	global_store_b128 v[4:5], v[12:15], off offset:8
.LBB10_381:
	s_wait_xcnt 0x0
	s_or_b32 exec_lo, exec_lo, s7
	v_lshlrev_b64_e32 v[2:3], 12, v[2:3]
	s_mov_b32 s12, 0
	v_and_or_b32 v0, 0xffffff1f, v0, 32
	s_mov_b32 s13, s12
	s_mov_b32 s14, s12
	s_mov_b32 s15, s12
	v_mov_b64_e32 v[12:13], s[12:13]
	v_add_nc_u64_e32 v[10:11], v[10:11], v[2:3]
	v_mov_b64_e32 v[14:15], s[14:15]
	v_dual_mov_b32 v2, v35 :: v_dual_mov_b32 v3, v35
	s_delay_alu instid0(VALU_DEP_3) | instskip(NEXT) | instid1(VALU_DEP_4)
	v_readfirstlane_b32 s10, v10
	v_readfirstlane_b32 s11, v11
	s_clause 0x3
	global_store_b128 v34, v[0:3], s[10:11]
	global_store_b128 v34, v[12:15], s[10:11] offset:16
	global_store_b128 v34, v[12:15], s[10:11] offset:32
	;; [unrolled: 1-line block ×3, first 2 shown]
	s_wait_xcnt 0x0
	s_and_saveexec_b32 s1, s0
	s_cbranch_execz .LBB10_389
; %bb.382:
	v_dual_mov_b32 v12, 0 :: v_dual_mov_b32 v15, s5
	s_mov_b32 s7, exec_lo
	s_clause 0x1
	global_load_b64 v[16:17], v12, s[2:3] offset:32 scope:SCOPE_SYS
	global_load_b64 v[0:1], v12, s[2:3] offset:40
	s_wait_loadcnt 0x0
	v_dual_mov_b32 v14, s4 :: v_dual_bitop2_b32 v1, s5, v1 bitop3:0x40
	v_and_b32_e32 v0, s4, v0
	s_delay_alu instid0(VALU_DEP_1) | instskip(NEXT) | instid1(VALU_DEP_1)
	v_mul_u64_e32 v[0:1], 24, v[0:1]
	v_add_nc_u64_e32 v[8:9], v[8:9], v[0:1]
	global_store_b64 v[8:9], v[16:17], off
	global_wb scope:SCOPE_SYS
	s_wait_storecnt 0x0
	s_wait_xcnt 0x0
	global_atomic_cmpswap_b64 v[2:3], v12, v[14:17], s[2:3] offset:32 th:TH_ATOMIC_RETURN scope:SCOPE_SYS
	s_wait_loadcnt 0x0
	v_cmpx_ne_u64_e64 v[2:3], v[16:17]
	s_cbranch_execz .LBB10_385
; %bb.383:
	s_mov_b32 s10, 0
.LBB10_384:                             ; =>This Inner Loop Header: Depth=1
	v_dual_mov_b32 v0, s4 :: v_dual_mov_b32 v1, s5
	s_sleep 1
	global_store_b64 v[8:9], v[2:3], off
	global_wb scope:SCOPE_SYS
	s_wait_storecnt 0x0
	s_wait_xcnt 0x0
	global_atomic_cmpswap_b64 v[0:1], v12, v[0:3], s[2:3] offset:32 th:TH_ATOMIC_RETURN scope:SCOPE_SYS
	s_wait_loadcnt 0x0
	v_cmp_eq_u64_e32 vcc_lo, v[0:1], v[2:3]
	v_mov_b64_e32 v[2:3], v[0:1]
	s_or_b32 s10, vcc_lo, s10
	s_delay_alu instid0(SALU_CYCLE_1)
	s_and_not1_b32 exec_lo, exec_lo, s10
	s_cbranch_execnz .LBB10_384
.LBB10_385:
	s_or_b32 exec_lo, exec_lo, s7
	v_mov_b32_e32 v3, 0
	s_mov_b32 s10, exec_lo
	s_mov_b32 s7, exec_lo
	v_mbcnt_lo_u32_b32 v2, s10, 0
	global_load_b64 v[0:1], v3, s[2:3] offset:16
	s_wait_xcnt 0x0
	v_cmpx_eq_u32_e32 0, v2
	s_cbranch_execz .LBB10_387
; %bb.386:
	s_bcnt1_i32_b32 s10, s10
	s_delay_alu instid0(SALU_CYCLE_1)
	v_mov_b32_e32 v2, s10
	global_wb scope:SCOPE_SYS
	s_wait_loadcnt 0x0
	s_wait_storecnt 0x0
	global_atomic_add_u64 v[0:1], v[2:3], off offset:8 scope:SCOPE_SYS
.LBB10_387:
	s_wait_xcnt 0x0
	s_or_b32 exec_lo, exec_lo, s7
	s_wait_loadcnt 0x0
	global_load_b64 v[2:3], v[0:1], off offset:16
	s_wait_loadcnt 0x0
	v_cmp_eq_u64_e32 vcc_lo, 0, v[2:3]
	s_cbranch_vccnz .LBB10_389
; %bb.388:
	global_load_b32 v0, v[0:1], off offset:24
	s_wait_xcnt 0x0
	v_mov_b32_e32 v1, 0
	s_wait_loadcnt 0x0
	v_readfirstlane_b32 s7, v0
	global_wb scope:SCOPE_SYS
	s_wait_storecnt 0x0
	global_store_b64 v[2:3], v[0:1], off scope:SCOPE_SYS
	s_and_b32 m0, s7, 0xffffff
	s_sendmsg sendmsg(MSG_INTERRUPT)
.LBB10_389:
	s_wait_xcnt 0x0
	s_or_b32 exec_lo, exec_lo, s1
	v_add_nc_u64_e32 v[0:1], v[10:11], v[34:35]
	s_branch .LBB10_393
.LBB10_390:                             ;   in Loop: Header=BB10_393 Depth=1
	s_wait_xcnt 0x0
	s_or_b32 exec_lo, exec_lo, s1
	s_delay_alu instid0(VALU_DEP_1)
	v_readfirstlane_b32 s1, v2
	s_cmp_eq_u32 s1, 0
	s_cbranch_scc1 .LBB10_392
; %bb.391:                              ;   in Loop: Header=BB10_393 Depth=1
	s_sleep 1
	s_cbranch_execnz .LBB10_393
	s_branch .LBB10_395
.LBB10_392:
	s_branch .LBB10_395
.LBB10_393:                             ; =>This Inner Loop Header: Depth=1
	v_mov_b32_e32 v2, 1
	s_and_saveexec_b32 s1, s0
	s_cbranch_execz .LBB10_390
; %bb.394:                              ;   in Loop: Header=BB10_393 Depth=1
	global_load_b32 v2, v[4:5], off offset:20 scope:SCOPE_SYS
	s_wait_loadcnt 0x0
	global_inv scope:SCOPE_SYS
	v_and_b32_e32 v2, 1, v2
	s_branch .LBB10_390
.LBB10_395:
	global_load_b64 v[0:1], v[0:1], off
	s_wait_xcnt 0x0
	s_and_saveexec_b32 s7, s0
	s_cbranch_execz .LBB10_399
; %bb.396:
	v_mov_b32_e32 v10, 0
	s_clause 0x2
	global_load_b64 v[2:3], v10, s[2:3] offset:40
	global_load_b64 v[14:15], v10, s[2:3] offset:24 scope:SCOPE_SYS
	global_load_b64 v[4:5], v10, s[2:3]
	s_wait_loadcnt 0x2
	v_readfirstlane_b32 s10, v2
	v_readfirstlane_b32 s11, v3
	s_add_nc_u64 s[0:1], s[10:11], 1
	s_delay_alu instid0(SALU_CYCLE_1) | instskip(NEXT) | instid1(SALU_CYCLE_1)
	s_add_nc_u64 s[4:5], s[0:1], s[4:5]
	s_cmp_eq_u64 s[4:5], 0
	s_cselect_b32 s1, s1, s5
	s_cselect_b32 s0, s0, s4
	v_mov_b32_e32 v13, s1
	s_and_b64 s[4:5], s[0:1], s[10:11]
	v_mov_b32_e32 v12, s0
	s_mul_u64 s[4:5], s[4:5], 24
	s_wait_loadcnt 0x0
	v_add_nc_u64_e32 v[8:9], s[4:5], v[4:5]
	global_store_b64 v[8:9], v[14:15], off
	global_wb scope:SCOPE_SYS
	s_wait_storecnt 0x0
	s_wait_xcnt 0x0
	global_atomic_cmpswap_b64 v[4:5], v10, v[12:15], s[2:3] offset:24 th:TH_ATOMIC_RETURN scope:SCOPE_SYS
	s_wait_loadcnt 0x0
	v_cmp_ne_u64_e32 vcc_lo, v[4:5], v[14:15]
	s_and_b32 exec_lo, exec_lo, vcc_lo
	s_cbranch_execz .LBB10_399
; %bb.397:
	s_mov_b32 s4, 0
.LBB10_398:                             ; =>This Inner Loop Header: Depth=1
	v_dual_mov_b32 v2, s0 :: v_dual_mov_b32 v3, s1
	s_sleep 1
	global_store_b64 v[8:9], v[4:5], off
	global_wb scope:SCOPE_SYS
	s_wait_storecnt 0x0
	s_wait_xcnt 0x0
	global_atomic_cmpswap_b64 v[2:3], v10, v[2:5], s[2:3] offset:24 th:TH_ATOMIC_RETURN scope:SCOPE_SYS
	s_wait_loadcnt 0x0
	v_cmp_eq_u64_e32 vcc_lo, v[2:3], v[4:5]
	v_mov_b64_e32 v[4:5], v[2:3]
	s_or_b32 s4, vcc_lo, s4
	s_delay_alu instid0(SALU_CYCLE_1)
	s_and_not1_b32 exec_lo, exec_lo, s4
	s_cbranch_execnz .LBB10_398
.LBB10_399:
	s_or_b32 exec_lo, exec_lo, s7
.LBB10_400:
	s_delay_alu instid0(SALU_CYCLE_1)
	s_or_b32 exec_lo, exec_lo, s6
	v_mov_b64_e32 v[2:3], v[6:7]
	s_mov_b32 s0, 0
.LBB10_401:                             ; =>This Inner Loop Header: Depth=1
	global_load_u8 v4, v[2:3], off
	s_wait_xcnt 0x0
	v_add_nc_u64_e32 v[2:3], 1, v[2:3]
	s_wait_loadcnt 0x0
	v_cmp_eq_u16_e32 vcc_lo, 0, v4
	s_or_b32 s0, vcc_lo, s0
	s_delay_alu instid0(SALU_CYCLE_1)
	s_and_not1_b32 exec_lo, exec_lo, s0
	s_cbranch_execnz .LBB10_401
; %bb.402:
	s_or_b32 exec_lo, exec_lo, s0
	v_dual_mov_b32 v3, v7 :: v_dual_sub_nc_u32 v4, v2, v6
	s_get_pc_i64 s[0:1]
	s_add_nc_u64 s[0:1], s[0:1], __ockl_fprintf_append_string_n@rel64+4
	v_dual_mov_b32 v2, v6 :: v_dual_mov_b32 v6, 1
	s_delay_alu instid0(VALU_DEP_2)
	v_ashrrev_i32_e32 v5, 31, v4
	s_swap_pc_i64 s[30:31], s[0:1]
	s_trap 2
.Lfunc_end10:
	.size	__assert_fail, .Lfunc_end10-__assert_fail
                                        ; -- End function
	.set .L__assert_fail.num_vgpr, max(55, .L__ockl_fprintf_append_string_n.num_vgpr)
	.set .L__assert_fail.num_agpr, max(0, .L__ockl_fprintf_append_string_n.num_agpr)
	.set .L__assert_fail.numbered_sgpr, max(34, .L__ockl_fprintf_append_string_n.numbered_sgpr)
	.set .L__assert_fail.num_named_barrier, max(0, .L__ockl_fprintf_append_string_n.num_named_barrier)
	.set .L__assert_fail.private_seg_size, 64+max(.L__ockl_fprintf_append_string_n.private_seg_size)
	.set .L__assert_fail.uses_vcc, or(1, .L__ockl_fprintf_append_string_n.uses_vcc)
	.set .L__assert_fail.uses_flat_scratch, or(1, .L__ockl_fprintf_append_string_n.uses_flat_scratch)
	.set .L__assert_fail.has_dyn_sized_stack, or(0, .L__ockl_fprintf_append_string_n.has_dyn_sized_stack)
	.set .L__assert_fail.has_recursion, or(0, .L__ockl_fprintf_append_string_n.has_recursion)
	.set .L__assert_fail.has_indirect_call, or(0, .L__ockl_fprintf_append_string_n.has_indirect_call)
	.section	.AMDGPU.csdata,"",@progbits
; Function info:
; codeLenInByte = 16056
; TotalNumSgprs: 36
; NumVgprs: 55
; ScratchSize: 64
; MemoryBound: 0
	.section	.text._ZN9rocsolver6v33100L15syevx_sort_eigsIffPfEEviPiPT0_lT1_iilS3_lS3_S3_,"axG",@progbits,_ZN9rocsolver6v33100L15syevx_sort_eigsIffPfEEviPiPT0_lT1_iilS3_lS3_S3_,comdat
	.globl	_ZN9rocsolver6v33100L15syevx_sort_eigsIffPfEEviPiPT0_lT1_iilS3_lS3_S3_ ; -- Begin function _ZN9rocsolver6v33100L15syevx_sort_eigsIffPfEEviPiPT0_lT1_iilS3_lS3_S3_
	.p2align	8
	.type	_ZN9rocsolver6v33100L15syevx_sort_eigsIffPfEEviPiPT0_lT1_iilS3_lS3_S3_,@function
_ZN9rocsolver6v33100L15syevx_sort_eigsIffPfEEviPiPT0_lT1_iilS3_lS3_S3_: ; @_ZN9rocsolver6v33100L15syevx_sort_eigsIffPfEEviPiPT0_lT1_iilS3_lS3_S3_
; %bb.0:
	s_load_b256 s[20:27], s[0:1], 0x8
	s_mov_b64 s[18:19], s[0:1]
	s_wait_xcnt 0x0
	s_bfe_u32 s0, ttmp6, 0x40010
	s_bfe_u32 s1, ttmp6, 0x40004
	s_add_co_i32 s0, s0, 1
	s_getreg_b32 s2, hwreg(HW_REG_IB_STS2, 6, 4)
	s_mul_i32 s0, ttmp7, s0
	s_load_b256 s[36:43], s[18:19], 0x30
	s_add_co_i32 s1, s1, s0
	s_cmp_eq_u32 s2, 0
	s_mov_b32 s35, 0
	s_cselect_b32 s34, ttmp7, s1
	s_mov_b64 s[28:29], 0
	s_mov_b32 s32, 0
	s_load_b64 s[0:1], s[18:19], 0x50
	s_wait_kmcnt 0x0
	s_load_b32 s44, s[20:21], s34 offset:0x0 scale_offset
	s_cmp_eq_u64 s[38:39], 0
	s_cbranch_scc1 .LBB11_2
; %bb.1:
	s_mul_u64 s[2:3], s[40:41], s[34:35]
	s_delay_alu instid0(SALU_CYCLE_1) | instskip(NEXT) | instid1(SALU_CYCLE_1)
	s_lshl_b64 s[2:3], s[2:3], 2
	s_add_nc_u64 s[28:29], s[38:39], s[2:3]
.LBB11_2:
	s_load_b32 s40, s[18:19], 0x0
	s_mov_b32 s2, -1
	s_wait_kmcnt 0x0
	s_cmp_le_i32 s44, s40
	s_cbranch_scc1 .LBB11_6
; %bb.3:
	s_and_b32 vcc_lo, exec_lo, s2
	s_cbranch_vccnz .LBB11_81
.LBB11_4:
	s_and_saveexec_b32 s0, s35
	s_cbranch_execnz .LBB11_82
.LBB11_5:
	s_endpgm
.LBB11_6:
	s_cmp_lg_u64 s[0:1], 0
	s_cbranch_scc0 .LBB11_28
; %bb.7:
	s_load_b64 s[2:3], s[18:19], 0x64
	s_load_b32 s41, s[42:43], s34 offset:0x0 scale_offset
	v_and_b32_e32 v1, 0x3ff, v0
	v_bfe_u32 v2, v0, 10, 10
	v_bfe_u32 v0, v0, 20, 10
	s_mul_i32 s38, s40, s34
	s_mov_b32 s39, 0
	s_delay_alu instid0(SALU_CYCLE_1)
	s_lshl_b64 s[4:5], s[38:39], 2
	s_barrier_signal -1
	s_add_nc_u64 s[20:21], s[0:1], s[4:5]
	s_barrier_wait -1
	s_wait_kmcnt 0x0
	s_lshr_b32 s6, s2, 16
	s_and_b32 s2, s2, 0xffff
	s_and_b32 s3, s3, 0xffff
	v_mad_u32_u24 v3, v2, s2, v1
	s_mul_i32 s2, s6, s2
	s_and_b32 s3, s3, 0xffff
	s_cmp_gt_i32 s44, 0
	s_mul_i32 s17, s2, s3
	v_mad_u32 v41, s2, v0, v3
	s_cselect_b32 s4, -1, 0
	s_cmp_lg_u64 s[22:23], 0
	s_cselect_b32 s5, -1, 0
	s_delay_alu instid0(SALU_CYCLE_1) | instskip(NEXT) | instid1(SALU_CYCLE_1)
	s_and_b32 s4, s5, s4
	s_and_b32 vcc_lo, exec_lo, s4
	s_cbranch_vccz .LBB11_29
; %bb.8:
	v_mad_u32 v42, s2, v0, v3
	s_cmp_lg_u64 s[0:1], 0
	s_cselect_b32 s10, -1, 0
	s_barrier_signal -1
	s_barrier_wait -1
	s_delay_alu instid0(VALU_DEP_1) | instskip(SKIP_1) | instid1(SALU_CYCLE_1)
	v_cmp_gt_u32_e32 vcc_lo, s44, v42
	s_and_b32 s1, s10, vcc_lo
	s_and_saveexec_b32 s0, s1
	s_cbranch_execz .LBB11_11
; %bb.9:
	v_mov_b32_e32 v3, v42
	s_mov_b32 s1, 0
.LBB11_10:                              ; =>This Inner Loop Header: Depth=1
	global_store_b32 v3, v3, s[20:21] scale_offset
	s_wait_xcnt 0x0
	v_add_nc_u32_e32 v3, s17, v3
	s_delay_alu instid0(VALU_DEP_1) | instskip(SKIP_1) | instid1(SALU_CYCLE_1)
	v_cmp_le_u32_e32 vcc_lo, s44, v3
	s_or_b32 s1, vcc_lo, s1
	s_and_not1_b32 exec_lo, exec_lo, s1
	s_cbranch_execnz .LBB11_10
.LBB11_11:
	s_or_b32 exec_lo, exec_lo, s0
	s_mul_u64 s[2:3], s[24:25], s[34:35]
	v_or3_b32 v0, v2, v0, v1
	s_lshl_b64 s[2:3], s[2:3], 2
	s_mov_b32 s1, 0
	s_add_nc_u64 s[2:3], s[22:23], s[2:3]
	s_mov_b32 s11, exec_lo
	s_wait_storecnt 0x0
	s_barrier_signal -1
	s_barrier_wait -1
	v_cmpx_eq_u32_e32 0, v0
	s_cbranch_execz .LBB11_31
; %bb.12:
	v_mov_b32_e32 v0, 0
	s_mov_b32 s12, 0
	s_get_pc_i64 s[4:5]
	s_add_nc_u64 s[4:5], s[4:5], __const._ZN9rocsolver6v33100L20shell_sort_ascendingIfiEEvT0_PT_PS2_.gaps@rel64+4
	s_branch .LBB11_14
.LBB11_13:                              ;   in Loop: Header=BB11_14 Depth=1
	s_wait_xcnt 0x0
	s_add_co_i32 s12, s12, 1
	s_delay_alu instid0(SALU_CYCLE_1)
	s_cmp_eq_u32 s12, 8
	s_cbranch_scc1 .LBB11_31
.LBB11_14:                              ; =>This Loop Header: Depth=1
                                        ;     Child Loop BB11_17 Depth 2
                                        ;       Child Loop BB11_21 Depth 3
	s_load_b32 s13, s[4:5], s12 offset:0x0 scale_offset
	s_wait_kmcnt 0x0
	s_cmp_ge_i32 s13, s44
	s_cbranch_scc1 .LBB11_13
; %bb.15:                               ;   in Loop: Header=BB11_14 Depth=1
	s_mov_b32 s14, 0
	s_mov_b32 s6, s13
	s_branch .LBB11_17
.LBB11_16:                              ;   in Loop: Header=BB11_17 Depth=2
	s_add_co_i32 s6, s6, 1
	s_add_co_i32 s14, s14, 1
	s_cmp_ge_i32 s6, s44
	s_cbranch_scc1 .LBB11_13
.LBB11_17:                              ;   Parent Loop BB11_14 Depth=1
                                        ; =>  This Loop Header: Depth=2
                                        ;       Child Loop BB11_21 Depth 3
	s_wait_xcnt 0x0
	v_mov_b32_e32 v1, s6
	s_and_not1_b32 vcc_lo, exec_lo, s10
	s_ashr_i32 s7, s6, 31
	global_load_b32 v1, v1, s[2:3] scale_offset
	s_cbranch_vccnz .LBB11_19
; %bb.18:                               ;   in Loop: Header=BB11_17 Depth=2
	s_lshl_b64 s[8:9], s[6:7], 2
	s_delay_alu instid0(SALU_CYCLE_1)
	s_add_nc_u64 s[8:9], s[20:21], s[8:9]
	global_load_b32 v2, v0, s[8:9]
	s_cmp_lt_i32 s6, s13
	s_wait_xcnt 0x0
	s_mov_b64 s[8:9], s[6:7]
	s_mov_b32 s0, s14
	s_cbranch_scc0 .LBB11_21
	s_branch .LBB11_26
.LBB11_19:                              ;   in Loop: Header=BB11_17 Depth=2
	v_mov_b32_e32 v2, 0
	s_cmp_lt_i32 s6, s13
	s_mov_b64 s[8:9], s[6:7]
	s_mov_b32 s0, s14
	s_cbranch_scc0 .LBB11_21
	s_branch .LBB11_26
.LBB11_20:                              ;   in Loop: Header=BB11_21 Depth=3
                                        ; implicit-def: $sgpr7
	s_and_b32 vcc_lo, exec_lo, s9
	s_mov_b32 s0, s7
	s_cbranch_vccnz .LBB11_25
.LBB11_21:                              ;   Parent Loop BB11_14 Depth=1
                                        ;     Parent Loop BB11_17 Depth=2
                                        ; =>    This Inner Loop Header: Depth=3
	s_wait_xcnt 0x0
	v_mov_b32_e32 v3, s0
	s_add_co_i32 s8, s13, s0
	s_mov_b32 s9, -1
	global_load_b32 v3, v3, s[2:3] scale_offset
	s_wait_loadcnt 0x0
	v_cmp_ngt_f32_e32 vcc_lo, v3, v1
	s_cbranch_vccnz .LBB11_20
; %bb.22:                               ;   in Loop: Header=BB11_21 Depth=3
	v_mov_b32_e32 v4, s8
	s_and_not1_b32 vcc_lo, exec_lo, s10
	global_store_b32 v4, v3, s[2:3] scale_offset
	s_cbranch_vccnz .LBB11_24
; %bb.23:                               ;   in Loop: Header=BB11_21 Depth=3
	s_lshl_b64 s[22:23], s[0:1], 2
	s_ashr_i32 s9, s8, 31
	s_add_nc_u64 s[22:23], s[20:21], s[22:23]
	s_lshl_b64 s[8:9], s[8:9], 2
	global_load_b32 v3, v0, s[22:23]
	s_add_nc_u64 s[8:9], s[20:21], s[8:9]
	s_wait_loadcnt 0x0
	global_store_b32 v0, v3, s[8:9]
.LBB11_24:                              ;   in Loop: Header=BB11_21 Depth=3
	s_sub_co_i32 s7, s0, s13
	s_cmp_lt_i32 s0, s13
	s_wait_xcnt 0x0
	s_mov_b32 s8, s0
	s_cselect_b32 s9, -1, 0
	s_delay_alu instid0(SALU_CYCLE_1)
	s_and_b32 vcc_lo, exec_lo, s9
	s_mov_b32 s0, s7
	s_cbranch_vccz .LBB11_21
.LBB11_25:                              ;   in Loop: Header=BB11_17 Depth=2
	s_ashr_i32 s9, s8, 31
.LBB11_26:                              ;   in Loop: Header=BB11_17 Depth=2
	s_delay_alu instid0(SALU_CYCLE_1)
	s_lshl_b64 s[8:9], s[8:9], 2
	s_and_not1_b32 vcc_lo, exec_lo, s10
	s_add_nc_u64 s[22:23], s[2:3], s[8:9]
	s_wait_loadcnt 0x0
	global_store_b32 v0, v1, s[22:23]
	s_cbranch_vccnz .LBB11_16
; %bb.27:                               ;   in Loop: Header=BB11_17 Depth=2
	s_add_nc_u64 s[8:9], s[20:21], s[8:9]
	global_store_b32 v0, v2, s[8:9]
	s_branch .LBB11_16
.LBB11_28:
	s_cbranch_execnz .LBB11_79
	s_branch .LBB11_80
.LBB11_29:
	s_mov_b32 s24, 0
                                        ; implicit-def: $vgpr42
                                        ; implicit-def: $vgpr2
	s_cbranch_execnz .LBB11_46
.LBB11_30:
	v_mov_b32_e32 v41, v42
	s_and_saveexec_b32 s25, s39
	s_cbranch_execnz .LBB11_47
	s_branch .LBB11_78
.LBB11_31:
	s_wait_xcnt 0x0
	s_or_b32 exec_lo, exec_lo, s11
	s_cmp_lt_u32 s44, 2
	s_mov_b32 s39, 0
	s_cselect_b32 s5, -1, 0
	s_wait_storecnt 0x0
	s_and_b32 vcc_lo, exec_lo, s5
	s_barrier_signal -1
	s_barrier_wait -1
	s_cbranch_vccnz .LBB11_39
; %bb.32:
	s_add_co_i32 s4, s44, -1
	s_mov_b32 s5, -1
	s_mov_b32 s0, 0
	s_mov_b32 s1, exec_lo
	v_cmpx_gt_u32_e64 s4, v42
	s_cbranch_execz .LBB11_41
; %bb.33:
	v_dual_mov_b32 v1, 0 :: v_dual_mov_b32 v0, v42
	s_mov_b32 s5, 0
                                        ; implicit-def: $sgpr6
	s_branch .LBB11_35
.LBB11_34:                              ;   in Loop: Header=BB11_35 Depth=1
	s_or_b32 exec_lo, exec_lo, s9
	s_xor_b32 s7, s8, -1
	s_and_b32 s0, exec_lo, s0
	s_delay_alu instid0(SALU_CYCLE_1) | instskip(SKIP_2) | instid1(SALU_CYCLE_1)
	s_or_b32 s5, s0, s5
	s_and_not1_b32 s0, s6, exec_lo
	s_and_b32 s6, s7, exec_lo
	s_or_b32 s6, s0, s6
	s_and_not1_b32 exec_lo, exec_lo, s5
	s_cbranch_execz .LBB11_40
.LBB11_35:                              ; =>This Inner Loop Header: Depth=1
	global_load_b32 v2, v0, s[2:3] scale_offset
	s_mov_b32 s8, exec_lo
	s_wait_loadcnt 0x0
	v_cmp_u_f32_e64 s7, v2, v2
	v_cmpx_o_f32_e32 v2, v2
	s_cbranch_execz .LBB11_37
; %bb.36:                               ;   in Loop: Header=BB11_35 Depth=1
	v_lshl_add_u64 v[4:5], v[0:1], 2, s[2:3]
	s_and_not1_b32 s7, s7, exec_lo
	global_load_b32 v3, v[4:5], off offset:4
	s_wait_loadcnt 0x0
	v_cmp_u_f32_e32 vcc_lo, v3, v3
	v_cmp_le_f32_e64 s0, v2, v3
	s_or_b32 s0, vcc_lo, s0
	s_delay_alu instid0(SALU_CYCLE_1) | instskip(NEXT) | instid1(SALU_CYCLE_1)
	s_and_b32 s0, s0, exec_lo
	s_or_b32 s7, s7, s0
.LBB11_37:                              ;   in Loop: Header=BB11_35 Depth=1
	s_or_b32 exec_lo, exec_lo, s8
	s_mov_b32 s0, -1
	s_mov_b32 s8, -1
	s_and_saveexec_b32 s9, s7
	s_cbranch_execz .LBB11_34
; %bb.38:                               ;   in Loop: Header=BB11_35 Depth=1
	v_add_nc_u32_e32 v0, s17, v0
	s_xor_b32 s8, exec_lo, -1
	s_delay_alu instid0(VALU_DEP_1)
	v_cmp_le_u32_e32 vcc_lo, s4, v0
	s_or_not1_b32 s0, vcc_lo, exec_lo
	s_branch .LBB11_34
.LBB11_39:
	s_mov_b32 s0, 0
	s_and_saveexec_b32 s1, s5
	s_cbranch_execnz .LBB11_42
	s_branch .LBB11_43
.LBB11_40:
	s_or_b32 exec_lo, exec_lo, s5
	s_delay_alu instid0(SALU_CYCLE_1)
	s_mov_b32 s0, exec_lo
	s_or_not1_b32 s5, s6, exec_lo
.LBB11_41:
	s_or_b32 exec_lo, exec_lo, s1
	s_and_saveexec_b32 s1, s5
	s_cbranch_execz .LBB11_43
.LBB11_42:
	s_mov_b32 s39, exec_lo
	s_barrier_signal -1
	s_barrier_wait -1
	s_and_not1_b32 s0, s0, exec_lo
.LBB11_43:
	s_or_b32 exec_lo, exec_lo, s1
	s_mov_b32 s22, 0
	s_mov_b32 s24, 0
	s_and_saveexec_b32 s1, s0
	s_delay_alu instid0(SALU_CYCLE_1)
	s_xor_b32 s23, exec_lo, s1
	s_cbranch_execz .LBB11_45
; %bb.44:
	s_get_pc_i64 s[0:1]
	s_add_nc_u64 s[0:1], s[0:1], .str.7@rel64+4
	s_get_pc_i64 s[2:3]
	s_add_nc_u64 s[2:3], s[2:3], .str.8@rel64+4
	s_get_pc_i64 s[4:5]
	s_add_nc_u64 s[4:5], s[4:5], __PRETTY_FUNCTION__._ZN9rocsolver6v33100L20shell_sort_ascendingIfiEEvT0_PT_PS2_@rel64+4
	v_dual_mov_b32 v0, s0 :: v_dual_mov_b32 v1, s1
	v_dual_mov_b32 v2, s2 :: v_dual_mov_b32 v3, s3
	v_dual_mov_b32 v4, 0xea :: v_dual_mov_b32 v5, s4
	v_mov_b32_e32 v6, s5
	s_add_nc_u64 s[8:9], s[18:19], 0x58
	s_get_pc_i64 s[6:7]
	s_add_nc_u64 s[6:7], s[6:7], __assert_fail@rel64+4
	s_delay_alu instid0(SALU_CYCLE_1)
	s_swap_pc_i64 s[30:31], s[6:7]
	s_mov_b32 s24, exec_lo
.LBB11_45:
	s_or_b32 exec_lo, exec_lo, s23
	v_mov_b32_e32 v2, s17
	s_and_b32 vcc_lo, exec_lo, s22
	s_cbranch_vccz .LBB11_30
.LBB11_46:
	v_mov_b32_e32 v2, s17
	s_or_b32 s39, s39, exec_lo
	s_delay_alu instid0(SALU_CYCLE_1)
	s_and_saveexec_b32 s25, s39
	s_cbranch_execz .LBB11_78
.LBB11_47:
	s_cmp_lt_i32 s44, 1
	s_wait_storecnt 0x0
	s_barrier_signal -1
	s_barrier_wait -1
	s_cbranch_scc1 .LBB11_67
; %bb.48:
	s_load_b64 s[8:9], s[18:19], 0x28
	s_mul_u64 s[6:7], s[36:37], s[34:35]
	v_cmp_eq_u32_e64 s0, 0, v41
	s_lshl_b64 s[6:7], s[6:7], 2
	v_cmp_gt_i32_e64 s1, s40, v41
	v_cmp_gt_i32_e64 s2, s41, v41
	v_mov_b32_e32 v3, 0
	s_add_nc_u64 s[10:11], s[26:27], s[6:7]
	s_mov_b32 s5, 0
	s_delay_alu instid0(SALU_CYCLE_1)
	s_mov_b32 s4, s5
	s_wait_kmcnt 0x0
	s_ashr_i32 s13, s8, 31
	s_mov_b32 s12, s8
	s_ashr_i32 s7, s9, 31
	s_mov_b32 s6, s9
	s_lshl_b64 s[8:9], s[12:13], 2
	s_cmp_lg_u64 s[28:29], 0
	s_add_nc_u64 s[8:9], s[10:11], s[8:9]
	s_cselect_b32 s3, -1, 0
	s_branch .LBB11_50
.LBB11_49:                              ;   in Loop: Header=BB11_50 Depth=1
	s_add_co_i32 s4, s4, 1
	s_delay_alu instid0(SALU_CYCLE_1)
	s_cmp_eq_u32 s4, s44
	s_cbranch_scc1 .LBB11_67
.LBB11_50:                              ; =>This Loop Header: Depth=1
                                        ;     Child Loop BB11_54 Depth 2
                                        ;       Child Loop BB11_58 Depth 3
                                        ;       Child Loop BB11_63 Depth 3
	v_mov_b32_e32 v0, s4
	s_barrier_signal -1
	s_barrier_wait -1
	global_load_b32 v0, v0, s[20:21] scale_offset
	s_wait_loadcnt 0x0
	v_cmp_eq_u32_e32 vcc_lo, s4, v0
	v_readfirstlane_b32 s12, v0
	s_cbranch_vccnz .LBB11_49
; %bb.51:                               ;   in Loop: Header=BB11_50 Depth=1
	s_lshl_b64 s[10:11], s[4:5], 2
	s_delay_alu instid0(SALU_CYCLE_1)
	s_add_nc_u64 s[10:11], s[20:21], s[10:11]
	s_branch .LBB11_54
.LBB11_52:                              ;   in Loop: Header=BB11_54 Depth=2
	s_or_b32 exec_lo, exec_lo, s13
	s_wait_storecnt 0x0
	s_barrier_signal -1
	s_barrier_wait -1
.LBB11_53:                              ;   in Loop: Header=BB11_54 Depth=2
	global_load_b32 v0, v3, s[10:11]
	s_wait_loadcnt 0x0
	v_cmp_ne_u32_e32 vcc_lo, s4, v0
	v_readfirstlane_b32 s12, v0
	s_cbranch_vccz .LBB11_49
.LBB11_54:                              ;   Parent Loop BB11_50 Depth=1
                                        ; =>  This Loop Header: Depth=2
                                        ;       Child Loop BB11_58 Depth 3
                                        ;       Child Loop BB11_63 Depth 3
	v_mov_b32_e32 v0, s12
	s_ashr_i32 s13, s12, 31
	global_load_b32 v0, v0, s[20:21] scale_offset
	s_wait_loadcnt 0x0
	s_barrier_signal -1
	s_barrier_wait -1
	v_readfirstlane_b32 s14, v0
	s_wait_xcnt 0x0
	s_and_saveexec_b32 s15, s0
	s_cbranch_execz .LBB11_56
; %bb.55:                               ;   in Loop: Header=BB11_54 Depth=2
	v_dual_mov_b32 v0, s12 :: v_dual_mov_b32 v1, s14
	s_lshl_b64 s[16:17], s[12:13], 2
	s_delay_alu instid0(SALU_CYCLE_1)
	s_add_nc_u64 s[16:17], s[20:21], s[16:17]
	s_clause 0x1
	global_store_b32 v3, v0, s[16:17]
	global_store_b32 v3, v1, s[10:11]
.LBB11_56:                              ;   in Loop: Header=BB11_54 Depth=2
	s_wait_xcnt 0x0
	s_or_b32 exec_lo, exec_lo, s15
	s_wait_storecnt 0x0
	s_barrier_signal -1
	s_barrier_wait -1
	s_barrier_signal -1
	s_barrier_wait -1
	s_and_saveexec_b32 s26, s1
	s_cbranch_execz .LBB11_59
; %bb.57:                               ;   in Loop: Header=BB11_54 Depth=2
	s_ashr_i32 s15, s14, 31
	s_mul_u64 s[16:17], s[12:13], s[6:7]
	s_mul_u64 s[22:23], s[14:15], s[6:7]
	v_mov_b32_e32 v0, v41
	s_lshl_b64 s[16:17], s[16:17], 2
	s_lshl_b64 s[22:23], s[22:23], 2
	s_add_nc_u64 s[16:17], s[8:9], s[16:17]
	s_add_nc_u64 s[22:23], s[8:9], s[22:23]
	s_mov_b32 s13, 0
.LBB11_58:                              ;   Parent Loop BB11_50 Depth=1
                                        ;     Parent Loop BB11_54 Depth=2
                                        ; =>    This Inner Loop Header: Depth=3
	s_clause 0x1
	global_load_b32 v1, v0, s[22:23] scale_offset
	global_load_b32 v4, v0, s[16:17] scale_offset
	s_wait_loadcnt 0x1
	global_store_b32 v0, v1, s[16:17] scale_offset
	s_wait_loadcnt 0x0
	global_store_b32 v0, v4, s[22:23] scale_offset
	s_wait_xcnt 0x0
	v_add_nc_u32_e32 v0, v0, v2
	s_delay_alu instid0(VALU_DEP_1) | instskip(SKIP_1) | instid1(SALU_CYCLE_1)
	v_cmp_le_i32_e32 vcc_lo, s40, v0
	s_or_b32 s13, vcc_lo, s13
	s_and_not1_b32 exec_lo, exec_lo, s13
	s_cbranch_execnz .LBB11_58
.LBB11_59:                              ;   in Loop: Header=BB11_54 Depth=2
	s_or_b32 exec_lo, exec_lo, s26
	s_delay_alu instid0(SALU_CYCLE_1)
	s_and_b32 vcc_lo, exec_lo, s3
	s_wait_storecnt 0x0
	s_barrier_signal -1
	s_barrier_wait -1
	s_cbranch_vccz .LBB11_53
; %bb.60:                               ;   in Loop: Header=BB11_54 Depth=2
	s_barrier_signal -1
	s_barrier_wait -1
	s_and_saveexec_b32 s13, s2
	s_cbranch_execz .LBB11_52
; %bb.61:                               ;   in Loop: Header=BB11_54 Depth=2
	v_mov_b32_e32 v0, v41
	s_add_co_i32 s12, s12, 1
	s_add_co_i32 s14, s14, 1
	s_mov_b32 s15, 0
	s_branch .LBB11_63
.LBB11_62:                              ;   in Loop: Header=BB11_63 Depth=3
	s_wait_xcnt 0x0
	s_or_b32 exec_lo, exec_lo, s17
	v_add_nc_u32_e32 v0, v0, v2
	s_delay_alu instid0(VALU_DEP_1) | instskip(SKIP_1) | instid1(SALU_CYCLE_1)
	v_cmp_le_i32_e32 vcc_lo, s41, v0
	s_or_b32 s15, vcc_lo, s15
	s_and_not1_b32 exec_lo, exec_lo, s15
	s_cbranch_execz .LBB11_52
.LBB11_63:                              ;   Parent Loop BB11_50 Depth=1
                                        ;     Parent Loop BB11_54 Depth=2
                                        ; =>    This Inner Loop Header: Depth=3
	global_load_b32 v1, v0, s[28:29] scale_offset
	v_mov_b32_e32 v4, s14
	s_mov_b32 s17, exec_lo
	s_wait_loadcnt 0x0
	v_cmp_eq_u32_e64 s16, s12, v1
	s_wait_xcnt 0x0
	v_cmpx_ne_u32_e64 s12, v1
; %bb.64:                               ;   in Loop: Header=BB11_63 Depth=3
	v_cmp_eq_u32_e32 vcc_lo, s14, v1
	v_mov_b32_e32 v4, s12
	s_and_not1_b32 s16, s16, exec_lo
	s_and_b32 s22, vcc_lo, exec_lo
	s_delay_alu instid0(SALU_CYCLE_1)
	s_or_b32 s16, s16, s22
; %bb.65:                               ;   in Loop: Header=BB11_63 Depth=3
	s_or_b32 exec_lo, exec_lo, s17
	s_and_saveexec_b32 s17, s16
	s_cbranch_execz .LBB11_62
; %bb.66:                               ;   in Loop: Header=BB11_63 Depth=3
	v_ashrrev_i32_e32 v1, 31, v0
	s_delay_alu instid0(VALU_DEP_1)
	v_lshl_add_u64 v[6:7], v[0:1], 2, s[28:29]
	global_store_b32 v[6:7], v4, off
	s_branch .LBB11_62
.LBB11_67:
	s_mov_b32 s2, -1
	s_mov_b32 s1, 0
	s_mov_b32 s0, exec_lo
	s_barrier_signal -1
	s_barrier_wait -1
	v_cmpx_gt_u32_e64 s44, v41
	s_cbranch_execz .LBB11_73
; %bb.68:
                                        ; implicit-def: $sgpr2
                                        ; implicit-def: $sgpr4
                                        ; implicit-def: $sgpr3
	s_branch .LBB11_70
.LBB11_69:                              ;   in Loop: Header=BB11_70 Depth=1
	s_or_b32 exec_lo, exec_lo, s5
	s_xor_b32 s5, s3, -1
	s_and_b32 s6, exec_lo, s4
	s_delay_alu instid0(SALU_CYCLE_1) | instskip(SKIP_2) | instid1(SALU_CYCLE_1)
	s_or_b32 s1, s6, s1
	s_and_not1_b32 s2, s2, exec_lo
	s_and_b32 s5, s5, exec_lo
	s_or_b32 s2, s2, s5
	s_and_not1_b32 exec_lo, exec_lo, s1
	s_cbranch_execz .LBB11_72
.LBB11_70:                              ; =>This Inner Loop Header: Depth=1
	global_load_b32 v0, v41, s[20:21] scale_offset
	s_or_b32 s3, s3, exec_lo
	s_or_b32 s4, s4, exec_lo
	s_mov_b32 s5, exec_lo
	s_wait_loadcnt 0x0
	v_cmpx_eq_u32_e64 v41, v0
	s_cbranch_execz .LBB11_69
; %bb.71:                               ;   in Loop: Header=BB11_70 Depth=1
	v_add_nc_u32_e32 v41, v41, v2
	s_and_not1_b32 s4, s4, exec_lo
	s_and_not1_b32 s3, s3, exec_lo
	s_delay_alu instid0(VALU_DEP_1) | instskip(SKIP_1) | instid1(SALU_CYCLE_1)
	v_cmp_le_u32_e32 vcc_lo, s44, v41
	s_and_b32 s6, vcc_lo, exec_lo
	s_or_b32 s4, s4, s6
	s_branch .LBB11_69
.LBB11_72:
	s_or_b32 exec_lo, exec_lo, s1
	s_delay_alu instid0(SALU_CYCLE_1)
	s_mov_b32 s1, exec_lo
	s_or_not1_b32 s2, s2, exec_lo
.LBB11_73:
	s_or_b32 exec_lo, exec_lo, s0
	s_and_saveexec_b32 s0, s2
	s_cbranch_execz .LBB11_75
; %bb.74:
	s_and_not1_b32 s1, s1, exec_lo
	s_barrier_signal -1
	s_barrier_wait -1
	s_barrier_signal -1
	s_barrier_wait -1
.LBB11_75:
	s_or_b32 exec_lo, exec_lo, s0
	s_mov_b32 s0, s24
	s_and_saveexec_b32 s2, s1
	s_delay_alu instid0(SALU_CYCLE_1)
	s_xor_b32 s17, exec_lo, s2
	s_cbranch_execz .LBB11_77
; %bb.76:
	s_get_pc_i64 s[0:1]
	s_add_nc_u64 s[0:1], s[0:1], .str.10@rel64+4
	s_get_pc_i64 s[2:3]
	s_add_nc_u64 s[2:3], s[2:3], .str.5@rel64+4
	s_get_pc_i64 s[4:5]
	s_add_nc_u64 s[4:5], s[4:5], __PRETTY_FUNCTION__._ZN9rocsolver6v33100L18syevx_permute_swapIfEEviiiPiPT_iS2_@rel64+4
	v_dual_mov_b32 v0, s0 :: v_dual_mov_b32 v1, s1
	v_dual_mov_b32 v2, s2 :: v_dual_mov_b32 v3, s3
	;; [unrolled: 1-line block ×3, first 2 shown]
	v_mov_b32_e32 v6, s5
	s_add_nc_u64 s[8:9], s[18:19], 0x58
	s_get_pc_i64 s[6:7]
	s_add_nc_u64 s[6:7], s[6:7], __assert_fail@rel64+4
	s_delay_alu instid0(SALU_CYCLE_1)
	s_swap_pc_i64 s[30:31], s[6:7]
	s_or_b32 s0, s24, exec_lo
.LBB11_77:
	s_or_b32 exec_lo, exec_lo, s17
	s_delay_alu instid0(SALU_CYCLE_1) | instskip(SKIP_1) | instid1(SALU_CYCLE_1)
	s_and_not1_b32 s1, s24, exec_lo
	s_and_b32 s0, s0, exec_lo
	s_or_b32 s24, s1, s0
.LBB11_78:
	s_or_b32 exec_lo, exec_lo, s25
	s_mov_b32 s35, s24
	s_branch .LBB11_80
.LBB11_79:
	s_get_pc_i64 s[0:1]
	s_add_nc_u64 s[0:1], s[0:1], .str.6@rel64+4
	s_get_pc_i64 s[2:3]
	s_add_nc_u64 s[2:3], s[2:3], .str.5@rel64+4
	s_get_pc_i64 s[4:5]
	s_add_nc_u64 s[4:5], s[4:5], __PRETTY_FUNCTION__._ZN9rocsolver6v33100L15syevx_sort_eigsIffPfEEviPiPT0_lT1_iilS3_lS3_S3_@rel64+4
	v_dual_mov_b32 v0, s0 :: v_dual_mov_b32 v1, s1
	v_dual_mov_b32 v2, s2 :: v_dual_mov_b32 v3, s3
	v_dual_mov_b32 v4, 0xa3 :: v_dual_mov_b32 v5, s4
	v_mov_b32_e32 v6, s5
	s_add_nc_u64 s[8:9], s[18:19], 0x58
	s_get_pc_i64 s[6:7]
	s_add_nc_u64 s[6:7], s[6:7], __assert_fail@rel64+4
	s_delay_alu instid0(SALU_CYCLE_1)
	s_swap_pc_i64 s[30:31], s[6:7]
	s_or_b32 s35, s35, exec_lo
.LBB11_80:
	s_branch .LBB11_4
.LBB11_81:
	s_get_pc_i64 s[0:1]
	s_add_nc_u64 s[0:1], s[0:1], .str.4@rel64+4
	s_get_pc_i64 s[2:3]
	s_add_nc_u64 s[2:3], s[2:3], .str.5@rel64+4
	s_get_pc_i64 s[4:5]
	s_add_nc_u64 s[4:5], s[4:5], __PRETTY_FUNCTION__._ZN9rocsolver6v33100L15syevx_sort_eigsIffPfEEviPiPT0_lT1_iilS3_lS3_S3_@rel64+4
	v_dual_mov_b32 v0, s0 :: v_dual_mov_b32 v1, s1
	v_dual_mov_b32 v2, s2 :: v_dual_mov_b32 v3, s3
	;; [unrolled: 1-line block ×3, first 2 shown]
	v_mov_b32_e32 v6, s5
	s_add_nc_u64 s[8:9], s[18:19], 0x58
	s_get_pc_i64 s[6:7]
	s_add_nc_u64 s[6:7], s[6:7], __assert_fail@rel64+4
	s_delay_alu instid0(SALU_CYCLE_1) | instskip(SKIP_1) | instid1(SALU_CYCLE_1)
	s_swap_pc_i64 s[30:31], s[6:7]
	s_or_b32 s35, s35, exec_lo
	s_and_saveexec_b32 s0, s35
	s_cbranch_execz .LBB11_5
.LBB11_82:
	; divergent unreachable
	s_endpgm
	.section	.rodata,"a",@progbits
	.p2align	6, 0x0
	.amdhsa_kernel _ZN9rocsolver6v33100L15syevx_sort_eigsIffPfEEviPiPT0_lT1_iilS3_lS3_S3_
		.amdhsa_group_segment_fixed_size 0
		.amdhsa_private_segment_fixed_size 64
		.amdhsa_kernarg_size 344
		.amdhsa_user_sgpr_count 2
		.amdhsa_user_sgpr_dispatch_ptr 0
		.amdhsa_user_sgpr_queue_ptr 0
		.amdhsa_user_sgpr_kernarg_segment_ptr 1
		.amdhsa_user_sgpr_dispatch_id 0
		.amdhsa_user_sgpr_kernarg_preload_length 0
		.amdhsa_user_sgpr_kernarg_preload_offset 0
		.amdhsa_user_sgpr_private_segment_size 0
		.amdhsa_wavefront_size32 1
		.amdhsa_uses_dynamic_stack 0
		.amdhsa_enable_private_segment 1
		.amdhsa_system_sgpr_workgroup_id_x 1
		.amdhsa_system_sgpr_workgroup_id_y 1
		.amdhsa_system_sgpr_workgroup_id_z 0
		.amdhsa_system_sgpr_workgroup_info 0
		.amdhsa_system_vgpr_workitem_id 2
		.amdhsa_next_free_vgpr 55
		.amdhsa_next_free_sgpr 45
		.amdhsa_named_barrier_count 0
		.amdhsa_reserve_vcc 1
		.amdhsa_float_round_mode_32 0
		.amdhsa_float_round_mode_16_64 0
		.amdhsa_float_denorm_mode_32 3
		.amdhsa_float_denorm_mode_16_64 3
		.amdhsa_fp16_overflow 0
		.amdhsa_memory_ordered 1
		.amdhsa_forward_progress 1
		.amdhsa_inst_pref_size 22
		.amdhsa_round_robin_scheduling 0
		.amdhsa_exception_fp_ieee_invalid_op 0
		.amdhsa_exception_fp_denorm_src 0
		.amdhsa_exception_fp_ieee_div_zero 0
		.amdhsa_exception_fp_ieee_overflow 0
		.amdhsa_exception_fp_ieee_underflow 0
		.amdhsa_exception_fp_ieee_inexact 0
		.amdhsa_exception_int_div_zero 0
	.end_amdhsa_kernel
	.section	.text._ZN9rocsolver6v33100L15syevx_sort_eigsIffPfEEviPiPT0_lT1_iilS3_lS3_S3_,"axG",@progbits,_ZN9rocsolver6v33100L15syevx_sort_eigsIffPfEEviPiPT0_lT1_iilS3_lS3_S3_,comdat
.Lfunc_end11:
	.size	_ZN9rocsolver6v33100L15syevx_sort_eigsIffPfEEviPiPT0_lT1_iilS3_lS3_S3_, .Lfunc_end11-_ZN9rocsolver6v33100L15syevx_sort_eigsIffPfEEviPiPT0_lT1_iilS3_lS3_S3_
                                        ; -- End function
	.set _ZN9rocsolver6v33100L15syevx_sort_eigsIffPfEEviPiPT0_lT1_iilS3_lS3_S3_.num_vgpr, max(43, .L__assert_fail.num_vgpr)
	.set _ZN9rocsolver6v33100L15syevx_sort_eigsIffPfEEviPiPT0_lT1_iilS3_lS3_S3_.num_agpr, max(0, .L__assert_fail.num_agpr)
	.set _ZN9rocsolver6v33100L15syevx_sort_eigsIffPfEEviPiPT0_lT1_iilS3_lS3_S3_.numbered_sgpr, max(45, .L__assert_fail.numbered_sgpr)
	.set _ZN9rocsolver6v33100L15syevx_sort_eigsIffPfEEviPiPT0_lT1_iilS3_lS3_S3_.num_named_barrier, max(0, .L__assert_fail.num_named_barrier)
	.set _ZN9rocsolver6v33100L15syevx_sort_eigsIffPfEEviPiPT0_lT1_iilS3_lS3_S3_.private_seg_size, 0+max(.L__assert_fail.private_seg_size)
	.set _ZN9rocsolver6v33100L15syevx_sort_eigsIffPfEEviPiPT0_lT1_iilS3_lS3_S3_.uses_vcc, or(1, .L__assert_fail.uses_vcc)
	.set _ZN9rocsolver6v33100L15syevx_sort_eigsIffPfEEviPiPT0_lT1_iilS3_lS3_S3_.uses_flat_scratch, or(0, .L__assert_fail.uses_flat_scratch)
	.set _ZN9rocsolver6v33100L15syevx_sort_eigsIffPfEEviPiPT0_lT1_iilS3_lS3_S3_.has_dyn_sized_stack, or(0, .L__assert_fail.has_dyn_sized_stack)
	.set _ZN9rocsolver6v33100L15syevx_sort_eigsIffPfEEviPiPT0_lT1_iilS3_lS3_S3_.has_recursion, or(0, .L__assert_fail.has_recursion)
	.set _ZN9rocsolver6v33100L15syevx_sort_eigsIffPfEEviPiPT0_lT1_iilS3_lS3_S3_.has_indirect_call, or(0, .L__assert_fail.has_indirect_call)
	.section	.AMDGPU.csdata,"",@progbits
; Kernel info:
; codeLenInByte = 2740
; TotalNumSgprs: 47
; NumVgprs: 55
; ScratchSize: 64
; MemoryBound: 0
; FloatMode: 240
; IeeeMode: 1
; LDSByteSize: 0 bytes/workgroup (compile time only)
; SGPRBlocks: 0
; VGPRBlocks: 3
; NumSGPRsForWavesPerEU: 47
; NumVGPRsForWavesPerEU: 55
; NamedBarCnt: 0
; Occupancy: 16
; WaveLimiterHint : 1
; COMPUTE_PGM_RSRC2:SCRATCH_EN: 1
; COMPUTE_PGM_RSRC2:USER_SGPR: 2
; COMPUTE_PGM_RSRC2:TRAP_HANDLER: 0
; COMPUTE_PGM_RSRC2:TGID_X_EN: 1
; COMPUTE_PGM_RSRC2:TGID_Y_EN: 1
; COMPUTE_PGM_RSRC2:TGID_Z_EN: 0
; COMPUTE_PGM_RSRC2:TIDIG_COMP_CNT: 2
	.section	.text._ZN9rocsolver6v33100L19bdsvdx_reorder_vectIfPfEEv13rocblas_fill_iPiPT_lT0_iilS6_,"axG",@progbits,_ZN9rocsolver6v33100L19bdsvdx_reorder_vectIfPfEEv13rocblas_fill_iPiPT_lT0_iilS6_,comdat
	.globl	_ZN9rocsolver6v33100L19bdsvdx_reorder_vectIfPfEEv13rocblas_fill_iPiPT_lT0_iilS6_ ; -- Begin function _ZN9rocsolver6v33100L19bdsvdx_reorder_vectIfPfEEv13rocblas_fill_iPiPT_lT0_iilS6_
	.p2align	8
	.type	_ZN9rocsolver6v33100L19bdsvdx_reorder_vectIfPfEEv13rocblas_fill_iPiPT_lT0_iilS6_,@function
_ZN9rocsolver6v33100L19bdsvdx_reorder_vectIfPfEEv13rocblas_fill_iPiPT_lT0_iilS6_: ; @_ZN9rocsolver6v33100L19bdsvdx_reorder_vectIfPfEEv13rocblas_fill_iPiPT_lT0_iilS6_
; %bb.0:
	s_load_b256 s[4:11], s[0:1], 0x8
	s_bfe_u32 s2, ttmp6, 0x40010
	s_bfe_u32 s3, ttmp6, 0x40004
	s_add_co_i32 s2, s2, 1
	s_getreg_b32 s12, hwreg(HW_REG_IB_STS2, 6, 4)
	s_mul_i32 s2, ttmp7, s2
	s_delay_alu instid0(SALU_CYCLE_1) | instskip(SKIP_2) | instid1(SALU_CYCLE_1)
	s_add_co_i32 s3, s3, s2
	s_cmp_eq_u32 s12, 0
	s_cselect_b32 s16, ttmp7, s3
	s_ashr_i32 s17, s16, 31
	s_delay_alu instid0(SALU_CYCLE_1)
	s_lshl_b64 s[2:3], s[16:17], 2
	s_wait_kmcnt 0x0
	s_add_nc_u64 s[4:5], s[4:5], s[2:3]
	s_load_b64 s[2:3], s[0:1], 0x0
	s_load_b32 s18, s[4:5], 0x0
	s_wait_kmcnt 0x0
	s_cmp_le_i32 s18, s3
	s_cbranch_scc1 .LBB12_4
; %bb.1:
	s_mov_b32 s12, exec_lo
	v_cmpx_eq_u32_e32 0, v0
	s_cbranch_execz .LBB12_3
; %bb.2:
	v_dual_mov_b32 v1, 0 :: v_dual_mov_b32 v2, s3
	global_store_b32 v1, v2, s[4:5]
.LBB12_3:
	s_wait_xcnt 0x0
	s_or_b32 exec_lo, exec_lo, s12
	s_mov_b32 s18, s3
.LBB12_4:
	s_load_b128 s[12:15], s[0:1], 0x30
	s_mul_i32 s4, s16, s3
	s_delay_alu instid0(SALU_CYCLE_1) | instskip(NEXT) | instid1(SALU_CYCLE_1)
	s_lshl_b32 s4, s4, 1
	s_ashr_i32 s5, s4, 31
	s_delay_alu instid0(SALU_CYCLE_1)
	s_lshl_b64 s[4:5], s[4:5], 2
	s_wait_kmcnt 0x0
	s_add_nc_u64 s[4:5], s[14:15], s[4:5]
	s_mov_b32 s14, exec_lo
	v_cmpx_gt_i32_e64 s18, v0
	s_cbranch_execz .LBB12_7
; %bb.5:
	s_load_b32 s15, s[0:1], 0x4c
	s_mul_u64 s[8:9], s[8:9], s[16:17]
	v_mov_b32_e32 v1, v0
	s_lshl_b64 s[8:9], s[8:9], 2
	s_delay_alu instid0(SALU_CYCLE_1)
	s_add_nc_u64 s[6:7], s[6:7], s[8:9]
	s_mov_b32 s9, 0
	s_wait_kmcnt 0x0
	s_and_b32 s8, s15, 0xffff
.LBB12_6:                               ; =>This Inner Loop Header: Depth=1
	global_load_b32 v2, v1, s[4:5] scale_offset
	s_wait_loadcnt 0x0
	v_xor_b32_e32 v2, 0x80000000, v2
	global_store_b32 v1, v2, s[6:7] scale_offset
	s_wait_xcnt 0x0
	v_add_nc_u32_e32 v1, s8, v1
	s_delay_alu instid0(VALU_DEP_1) | instskip(SKIP_1) | instid1(SALU_CYCLE_1)
	v_cmp_le_i32_e32 vcc_lo, s18, v1
	s_or_b32 s9, vcc_lo, s9
	s_and_not1_b32 exec_lo, exec_lo, s9
	s_cbranch_execnz .LBB12_6
.LBB12_7:
	s_or_b32 exec_lo, exec_lo, s14
	s_cmp_lt_i32 s18, 1
	s_wait_storecnt 0x0
	s_barrier_signal -1
	s_barrier_wait -1
	s_cbranch_scc1 .LBB12_23
; %bb.8:
	s_load_b64 s[6:7], s[0:1], 0x28
	s_mul_u64 s[14:15], s[12:13], s[16:17]
	s_lshl_b32 s12, s3, 1
	s_lshl_b64 s[14:15], s[14:15], 2
	s_add_nc_u64 s[8:9], s[0:1], 64
	s_wait_xcnt 0x0
	v_cmp_gt_i32_e64 s0, s3, v0
	v_lshlrev_b32_e32 v1, 1, v0
	v_cmp_gt_i32_e64 s1, s12, v0
	s_add_nc_u64 s[10:11], s[10:11], s[14:15]
	s_mov_b32 s13, s3
	s_wait_kmcnt 0x0
	s_ashr_i32 s17, s6, 31
	s_mov_b32 s16, s6
	s_mov_b32 s6, 0
	s_lshl_b64 s[14:15], s[16:17], 2
	s_cmp_lg_u32 s2, 0x79
	s_add_nc_u64 s[10:11], s[10:11], s[14:15]
	s_cselect_b32 s2, -1, 0
	s_mov_b32 s14, 0
	s_branch .LBB12_11
.LBB12_9:                               ;   in Loop: Header=BB12_11 Depth=1
	s_or_b32 exec_lo, exec_lo, s15
.LBB12_10:                              ;   in Loop: Header=BB12_11 Depth=1
	s_add_co_i32 s14, s14, 1
	s_add_co_i32 s6, s6, s7
	;; [unrolled: 1-line block ×3, first 2 shown]
	s_cmp_lg_u32 s14, s18
	s_wait_storecnt 0x0
	s_barrier_signal -1
	s_barrier_wait -1
	s_cbranch_scc0 .LBB12_23
.LBB12_11:                              ; =>This Loop Header: Depth=1
                                        ;     Child Loop BB12_13 Depth 2
                                        ;     Child Loop BB12_17 Depth 2
	;; [unrolled: 1-line block ×3, first 2 shown]
	s_and_saveexec_b32 s15, s1
	s_cbranch_execz .LBB12_14
; %bb.12:                               ;   in Loop: Header=BB12_11 Depth=1
	s_load_b32 s16, s[8:9], 0xc
	v_mov_b32_e32 v2, v0
	s_mov_b32 s17, 0
	s_wait_kmcnt 0x0
	s_and_b32 s16, s16, 0xffff
.LBB12_13:                              ;   Parent Loop BB12_11 Depth=1
                                        ; =>  This Inner Loop Header: Depth=2
	s_delay_alu instid0(VALU_DEP_1)
	v_add_nc_u32_e32 v3, s6, v2
	global_load_b32 v3, v3, s[10:11] scale_offset
	s_wait_loadcnt 0x0
	global_store_b32 v2, v3, s[4:5] scale_offset
	s_wait_xcnt 0x0
	v_add_nc_u32_e32 v2, s16, v2
	s_delay_alu instid0(VALU_DEP_1) | instskip(SKIP_1) | instid1(SALU_CYCLE_1)
	v_cmp_le_i32_e32 vcc_lo, s12, v2
	s_or_b32 s17, vcc_lo, s17
	s_and_not1_b32 exec_lo, exec_lo, s17
	s_cbranch_execnz .LBB12_13
.LBB12_14:                              ;   in Loop: Header=BB12_11 Depth=1
	s_or_b32 exec_lo, exec_lo, s15
	s_delay_alu instid0(SALU_CYCLE_1)
	s_and_not1_b32 vcc_lo, exec_lo, s2
	s_mov_b32 s15, -1
	s_wait_storecnt 0x0
	s_barrier_signal -1
	s_barrier_wait -1
	s_cbranch_vccnz .LBB12_19
; %bb.15:                               ;   in Loop: Header=BB12_11 Depth=1
	s_and_saveexec_b32 s15, s0
	s_cbranch_execz .LBB12_18
; %bb.16:                               ;   in Loop: Header=BB12_11 Depth=1
	s_load_b32 s16, s[8:9], 0xc
	v_dual_mov_b32 v2, v1 :: v_dual_mov_b32 v3, v0
	s_mov_b32 s19, 0
	s_wait_kmcnt 0x0
	s_and_b32 s16, s16, 0xffff
	s_delay_alu instid0(SALU_CYCLE_1)
	s_lshl_b32 s17, s16, 1
.LBB12_17:                              ;   Parent Loop BB12_11 Depth=1
                                        ; =>  This Inner Loop Header: Depth=2
	global_load_b32 v4, v2, s[4:5] scale_offset
	s_wait_loadcnt 0x0
	v_dual_mul_f32 v4, 0x3fb504f3, v4 :: v_dual_add_nc_u32 v5, s6, v3
	global_store_b32 v5, v4, s[10:11] scale_offset
	global_load_b32 v4, v2, s[4:5] offset:4 scale_offset
	v_dual_add_nc_u32 v5, s13, v3 :: v_dual_add_nc_u32 v3, s16, v3
	s_wait_xcnt 0x0
	v_add_nc_u32_e32 v2, s17, v2
	s_delay_alu instid0(VALU_DEP_2)
	v_cmp_le_i32_e32 vcc_lo, s3, v3
	s_or_b32 s19, vcc_lo, s19
	s_wait_loadcnt 0x0
	v_mul_f32_e32 v4, 0xbfb504f3, v4
	global_store_b32 v5, v4, s[10:11] scale_offset
	s_wait_xcnt 0x0
	s_and_not1_b32 exec_lo, exec_lo, s19
	s_cbranch_execnz .LBB12_17
.LBB12_18:                              ;   in Loop: Header=BB12_11 Depth=1
	s_or_b32 exec_lo, exec_lo, s15
	s_mov_b32 s15, 0
.LBB12_19:                              ;   in Loop: Header=BB12_11 Depth=1
	s_delay_alu instid0(SALU_CYCLE_1)
	s_and_not1_b32 vcc_lo, exec_lo, s15
	s_cbranch_vccnz .LBB12_10
; %bb.20:                               ;   in Loop: Header=BB12_11 Depth=1
	s_and_saveexec_b32 s15, s0
	s_cbranch_execz .LBB12_9
; %bb.21:                               ;   in Loop: Header=BB12_11 Depth=1
	s_load_b32 s16, s[8:9], 0xc
	v_dual_mov_b32 v2, v1 :: v_dual_mov_b32 v3, v0
	s_mov_b32 s19, 0
	s_wait_kmcnt 0x0
	s_and_b32 s16, s16, 0xffff
	s_delay_alu instid0(SALU_CYCLE_1)
	s_lshl_b32 s17, s16, 1
.LBB12_22:                              ;   Parent Loop BB12_11 Depth=1
                                        ; =>  This Inner Loop Header: Depth=2
	global_load_b32 v4, v2, s[4:5] offset:4 scale_offset
	s_wait_loadcnt 0x0
	v_dual_mul_f32 v4, 0x3fb504f3, v4 :: v_dual_add_nc_u32 v5, s6, v3
	global_store_b32 v5, v4, s[10:11] scale_offset
	global_load_b32 v4, v2, s[4:5] scale_offset
	v_dual_add_nc_u32 v5, s13, v3 :: v_dual_add_nc_u32 v3, s16, v3
	s_wait_xcnt 0x0
	v_add_nc_u32_e32 v2, s17, v2
	s_delay_alu instid0(VALU_DEP_2)
	v_cmp_le_i32_e32 vcc_lo, s3, v3
	s_or_b32 s19, vcc_lo, s19
	s_wait_loadcnt 0x0
	v_mul_f32_e32 v4, 0xbfb504f3, v4
	global_store_b32 v5, v4, s[10:11] scale_offset
	s_wait_xcnt 0x0
	s_and_not1_b32 exec_lo, exec_lo, s19
	s_cbranch_execnz .LBB12_22
	s_branch .LBB12_9
.LBB12_23:
	s_endpgm
	.section	.rodata,"a",@progbits
	.p2align	6, 0x0
	.amdhsa_kernel _ZN9rocsolver6v33100L19bdsvdx_reorder_vectIfPfEEv13rocblas_fill_iPiPT_lT0_iilS6_
		.amdhsa_group_segment_fixed_size 0
		.amdhsa_private_segment_fixed_size 0
		.amdhsa_kernarg_size 320
		.amdhsa_user_sgpr_count 2
		.amdhsa_user_sgpr_dispatch_ptr 0
		.amdhsa_user_sgpr_queue_ptr 0
		.amdhsa_user_sgpr_kernarg_segment_ptr 1
		.amdhsa_user_sgpr_dispatch_id 0
		.amdhsa_user_sgpr_kernarg_preload_length 0
		.amdhsa_user_sgpr_kernarg_preload_offset 0
		.amdhsa_user_sgpr_private_segment_size 0
		.amdhsa_wavefront_size32 1
		.amdhsa_uses_dynamic_stack 0
		.amdhsa_enable_private_segment 0
		.amdhsa_system_sgpr_workgroup_id_x 1
		.amdhsa_system_sgpr_workgroup_id_y 1
		.amdhsa_system_sgpr_workgroup_id_z 0
		.amdhsa_system_sgpr_workgroup_info 0
		.amdhsa_system_vgpr_workitem_id 0
		.amdhsa_next_free_vgpr 6
		.amdhsa_next_free_sgpr 20
		.amdhsa_named_barrier_count 0
		.amdhsa_reserve_vcc 1
		.amdhsa_float_round_mode_32 0
		.amdhsa_float_round_mode_16_64 0
		.amdhsa_float_denorm_mode_32 3
		.amdhsa_float_denorm_mode_16_64 3
		.amdhsa_fp16_overflow 0
		.amdhsa_memory_ordered 1
		.amdhsa_forward_progress 1
		.amdhsa_inst_pref_size 8
		.amdhsa_round_robin_scheduling 0
		.amdhsa_exception_fp_ieee_invalid_op 0
		.amdhsa_exception_fp_denorm_src 0
		.amdhsa_exception_fp_ieee_div_zero 0
		.amdhsa_exception_fp_ieee_overflow 0
		.amdhsa_exception_fp_ieee_underflow 0
		.amdhsa_exception_fp_ieee_inexact 0
		.amdhsa_exception_int_div_zero 0
	.end_amdhsa_kernel
	.section	.text._ZN9rocsolver6v33100L19bdsvdx_reorder_vectIfPfEEv13rocblas_fill_iPiPT_lT0_iilS6_,"axG",@progbits,_ZN9rocsolver6v33100L19bdsvdx_reorder_vectIfPfEEv13rocblas_fill_iPiPT_lT0_iilS6_,comdat
.Lfunc_end12:
	.size	_ZN9rocsolver6v33100L19bdsvdx_reorder_vectIfPfEEv13rocblas_fill_iPiPT_lT0_iilS6_, .Lfunc_end12-_ZN9rocsolver6v33100L19bdsvdx_reorder_vectIfPfEEv13rocblas_fill_iPiPT_lT0_iilS6_
                                        ; -- End function
	.set _ZN9rocsolver6v33100L19bdsvdx_reorder_vectIfPfEEv13rocblas_fill_iPiPT_lT0_iilS6_.num_vgpr, 6
	.set _ZN9rocsolver6v33100L19bdsvdx_reorder_vectIfPfEEv13rocblas_fill_iPiPT_lT0_iilS6_.num_agpr, 0
	.set _ZN9rocsolver6v33100L19bdsvdx_reorder_vectIfPfEEv13rocblas_fill_iPiPT_lT0_iilS6_.numbered_sgpr, 20
	.set _ZN9rocsolver6v33100L19bdsvdx_reorder_vectIfPfEEv13rocblas_fill_iPiPT_lT0_iilS6_.num_named_barrier, 0
	.set _ZN9rocsolver6v33100L19bdsvdx_reorder_vectIfPfEEv13rocblas_fill_iPiPT_lT0_iilS6_.private_seg_size, 0
	.set _ZN9rocsolver6v33100L19bdsvdx_reorder_vectIfPfEEv13rocblas_fill_iPiPT_lT0_iilS6_.uses_vcc, 1
	.set _ZN9rocsolver6v33100L19bdsvdx_reorder_vectIfPfEEv13rocblas_fill_iPiPT_lT0_iilS6_.uses_flat_scratch, 0
	.set _ZN9rocsolver6v33100L19bdsvdx_reorder_vectIfPfEEv13rocblas_fill_iPiPT_lT0_iilS6_.has_dyn_sized_stack, 0
	.set _ZN9rocsolver6v33100L19bdsvdx_reorder_vectIfPfEEv13rocblas_fill_iPiPT_lT0_iilS6_.has_recursion, 0
	.set _ZN9rocsolver6v33100L19bdsvdx_reorder_vectIfPfEEv13rocblas_fill_iPiPT_lT0_iilS6_.has_indirect_call, 0
	.section	.AMDGPU.csdata,"",@progbits
; Kernel info:
; codeLenInByte = 964
; TotalNumSgprs: 22
; NumVgprs: 6
; ScratchSize: 0
; MemoryBound: 0
; FloatMode: 240
; IeeeMode: 1
; LDSByteSize: 0 bytes/workgroup (compile time only)
; SGPRBlocks: 0
; VGPRBlocks: 0
; NumSGPRsForWavesPerEU: 22
; NumVGPRsForWavesPerEU: 6
; NamedBarCnt: 0
; Occupancy: 16
; WaveLimiterHint : 0
; COMPUTE_PGM_RSRC2:SCRATCH_EN: 0
; COMPUTE_PGM_RSRC2:USER_SGPR: 2
; COMPUTE_PGM_RSRC2:TRAP_HANDLER: 0
; COMPUTE_PGM_RSRC2:TGID_X_EN: 1
; COMPUTE_PGM_RSRC2:TGID_Y_EN: 1
; COMPUTE_PGM_RSRC2:TGID_Z_EN: 0
; COMPUTE_PGM_RSRC2:TIDIG_COMP_CNT: 0
	.section	.text._ZN9rocsolver6v33100L10reset_infoIdiiEEvPT_T0_T1_S4_,"axG",@progbits,_ZN9rocsolver6v33100L10reset_infoIdiiEEvPT_T0_T1_S4_,comdat
	.globl	_ZN9rocsolver6v33100L10reset_infoIdiiEEvPT_T0_T1_S4_ ; -- Begin function _ZN9rocsolver6v33100L10reset_infoIdiiEEvPT_T0_T1_S4_
	.p2align	8
	.type	_ZN9rocsolver6v33100L10reset_infoIdiiEEvPT_T0_T1_S4_,@function
_ZN9rocsolver6v33100L10reset_infoIdiiEEvPT_T0_T1_S4_: ; @_ZN9rocsolver6v33100L10reset_infoIdiiEEvPT_T0_T1_S4_
; %bb.0:
	s_clause 0x1
	s_load_b32 s2, s[0:1], 0x24
	s_load_b96 s[4:6], s[0:1], 0x8
	s_bfe_u32 s3, ttmp6, 0x4000c
	s_and_b32 s7, ttmp6, 15
	s_add_co_i32 s3, s3, 1
	s_getreg_b32 s8, hwreg(HW_REG_IB_STS2, 6, 4)
	s_mul_i32 s3, ttmp9, s3
	s_delay_alu instid0(SALU_CYCLE_1) | instskip(SKIP_4) | instid1(SALU_CYCLE_1)
	s_add_co_i32 s7, s7, s3
	s_wait_kmcnt 0x0
	s_and_b32 s2, s2, 0xffff
	s_cmp_eq_u32 s8, 0
	s_cselect_b32 s3, ttmp9, s7
	v_mad_u32 v0, s3, s2, v0
	s_mov_b32 s2, exec_lo
	s_delay_alu instid0(VALU_DEP_1)
	v_cmpx_gt_i32_e64 s4, v0
	s_cbranch_execz .LBB13_2
; %bb.1:
	v_mul_lo_u32 v1, v0, s6
	v_cvt_f64_i32_e32 v[2:3], s5
	s_load_b64 s[0:1], s[0:1], 0x0
	s_delay_alu instid0(VALU_DEP_2) | instskip(NEXT) | instid1(VALU_DEP_1)
	v_cvt_f64_i32_e32 v[4:5], v1
	v_add_f64_e32 v[2:3], v[2:3], v[4:5]
	s_wait_kmcnt 0x0
	global_store_b64 v0, v[2:3], s[0:1] scale_offset
.LBB13_2:
	s_endpgm
	.section	.rodata,"a",@progbits
	.p2align	6, 0x0
	.amdhsa_kernel _ZN9rocsolver6v33100L10reset_infoIdiiEEvPT_T0_T1_S4_
		.amdhsa_group_segment_fixed_size 0
		.amdhsa_private_segment_fixed_size 0
		.amdhsa_kernarg_size 280
		.amdhsa_user_sgpr_count 2
		.amdhsa_user_sgpr_dispatch_ptr 0
		.amdhsa_user_sgpr_queue_ptr 0
		.amdhsa_user_sgpr_kernarg_segment_ptr 1
		.amdhsa_user_sgpr_dispatch_id 0
		.amdhsa_user_sgpr_kernarg_preload_length 0
		.amdhsa_user_sgpr_kernarg_preload_offset 0
		.amdhsa_user_sgpr_private_segment_size 0
		.amdhsa_wavefront_size32 1
		.amdhsa_uses_dynamic_stack 0
		.amdhsa_enable_private_segment 0
		.amdhsa_system_sgpr_workgroup_id_x 1
		.amdhsa_system_sgpr_workgroup_id_y 0
		.amdhsa_system_sgpr_workgroup_id_z 0
		.amdhsa_system_sgpr_workgroup_info 0
		.amdhsa_system_vgpr_workitem_id 0
		.amdhsa_next_free_vgpr 6
		.amdhsa_next_free_sgpr 9
		.amdhsa_named_barrier_count 0
		.amdhsa_reserve_vcc 0
		.amdhsa_float_round_mode_32 0
		.amdhsa_float_round_mode_16_64 0
		.amdhsa_float_denorm_mode_32 3
		.amdhsa_float_denorm_mode_16_64 3
		.amdhsa_fp16_overflow 0
		.amdhsa_memory_ordered 1
		.amdhsa_forward_progress 1
		.amdhsa_inst_pref_size 2
		.amdhsa_round_robin_scheduling 0
		.amdhsa_exception_fp_ieee_invalid_op 0
		.amdhsa_exception_fp_denorm_src 0
		.amdhsa_exception_fp_ieee_div_zero 0
		.amdhsa_exception_fp_ieee_overflow 0
		.amdhsa_exception_fp_ieee_underflow 0
		.amdhsa_exception_fp_ieee_inexact 0
		.amdhsa_exception_int_div_zero 0
	.end_amdhsa_kernel
	.section	.text._ZN9rocsolver6v33100L10reset_infoIdiiEEvPT_T0_T1_S4_,"axG",@progbits,_ZN9rocsolver6v33100L10reset_infoIdiiEEvPT_T0_T1_S4_,comdat
.Lfunc_end13:
	.size	_ZN9rocsolver6v33100L10reset_infoIdiiEEvPT_T0_T1_S4_, .Lfunc_end13-_ZN9rocsolver6v33100L10reset_infoIdiiEEvPT_T0_T1_S4_
                                        ; -- End function
	.set _ZN9rocsolver6v33100L10reset_infoIdiiEEvPT_T0_T1_S4_.num_vgpr, 6
	.set _ZN9rocsolver6v33100L10reset_infoIdiiEEvPT_T0_T1_S4_.num_agpr, 0
	.set _ZN9rocsolver6v33100L10reset_infoIdiiEEvPT_T0_T1_S4_.numbered_sgpr, 9
	.set _ZN9rocsolver6v33100L10reset_infoIdiiEEvPT_T0_T1_S4_.num_named_barrier, 0
	.set _ZN9rocsolver6v33100L10reset_infoIdiiEEvPT_T0_T1_S4_.private_seg_size, 0
	.set _ZN9rocsolver6v33100L10reset_infoIdiiEEvPT_T0_T1_S4_.uses_vcc, 0
	.set _ZN9rocsolver6v33100L10reset_infoIdiiEEvPT_T0_T1_S4_.uses_flat_scratch, 0
	.set _ZN9rocsolver6v33100L10reset_infoIdiiEEvPT_T0_T1_S4_.has_dyn_sized_stack, 0
	.set _ZN9rocsolver6v33100L10reset_infoIdiiEEvPT_T0_T1_S4_.has_recursion, 0
	.set _ZN9rocsolver6v33100L10reset_infoIdiiEEvPT_T0_T1_S4_.has_indirect_call, 0
	.section	.AMDGPU.csdata,"",@progbits
; Kernel info:
; codeLenInByte = 152
; TotalNumSgprs: 9
; NumVgprs: 6
; ScratchSize: 0
; MemoryBound: 0
; FloatMode: 240
; IeeeMode: 1
; LDSByteSize: 0 bytes/workgroup (compile time only)
; SGPRBlocks: 0
; VGPRBlocks: 0
; NumSGPRsForWavesPerEU: 9
; NumVGPRsForWavesPerEU: 6
; NamedBarCnt: 0
; Occupancy: 16
; WaveLimiterHint : 0
; COMPUTE_PGM_RSRC2:SCRATCH_EN: 0
; COMPUTE_PGM_RSRC2:USER_SGPR: 2
; COMPUTE_PGM_RSRC2:TRAP_HANDLER: 0
; COMPUTE_PGM_RSRC2:TGID_X_EN: 1
; COMPUTE_PGM_RSRC2:TGID_Y_EN: 0
; COMPUTE_PGM_RSRC2:TGID_Z_EN: 0
; COMPUTE_PGM_RSRC2:TIDIG_COMP_CNT: 0
	.section	.text._ZN9rocsolver6v33100L8copy_matIdPdS2_NS0_7no_maskEEEviiT0_iilT1_iilT2_13rocblas_fill_17rocblas_diagonal_,"axG",@progbits,_ZN9rocsolver6v33100L8copy_matIdPdS2_NS0_7no_maskEEEviiT0_iilT1_iilT2_13rocblas_fill_17rocblas_diagonal_,comdat
	.globl	_ZN9rocsolver6v33100L8copy_matIdPdS2_NS0_7no_maskEEEviiT0_iilT1_iilT2_13rocblas_fill_17rocblas_diagonal_ ; -- Begin function _ZN9rocsolver6v33100L8copy_matIdPdS2_NS0_7no_maskEEEviiT0_iilT1_iilT2_13rocblas_fill_17rocblas_diagonal_
	.p2align	8
	.type	_ZN9rocsolver6v33100L8copy_matIdPdS2_NS0_7no_maskEEEviiT0_iilT1_iilT2_13rocblas_fill_17rocblas_diagonal_,@function
_ZN9rocsolver6v33100L8copy_matIdPdS2_NS0_7no_maskEEEviiT0_iilT1_iilT2_13rocblas_fill_17rocblas_diagonal_: ; @_ZN9rocsolver6v33100L8copy_matIdPdS2_NS0_7no_maskEEEviiT0_iilT1_iilT2_13rocblas_fill_17rocblas_diagonal_
; %bb.0:
	s_clause 0x1
	s_load_b32 s2, s[0:1], 0x54
	s_load_b64 s[4:5], s[0:1], 0x0
	s_bfe_u32 s7, ttmp6, 0x4000c
	s_bfe_u32 s9, ttmp6, 0x40010
	s_and_b32 s8, ttmp7, 0xffff
	s_add_co_i32 s7, s7, 1
	s_add_co_i32 s9, s9, 1
	s_and_b32 s6, ttmp6, 15
	s_bfe_u32 s10, ttmp6, 0x40004
	s_mul_i32 s7, ttmp9, s7
	s_mul_i32 s9, s8, s9
	s_getreg_b32 s3, hwreg(HW_REG_IB_STS2, 6, 4)
	v_bfe_u32 v1, v0, 10, 10
	v_and_b32_e32 v0, 0x3ff, v0
	s_add_co_i32 s6, s6, s7
	s_add_co_i32 s10, s10, s9
	s_wait_kmcnt 0x0
	s_lshr_b32 s7, s2, 16
	s_and_b32 s2, s2, 0xffff
	s_cmp_eq_u32 s3, 0
	s_cselect_b32 s6, ttmp9, s6
	s_cselect_b32 s8, s8, s10
	v_mad_u32 v0, s6, s2, v0
	v_mad_u32 v1, s8, s7, v1
	s_delay_alu instid0(VALU_DEP_2) | instskip(NEXT) | instid1(VALU_DEP_2)
	v_cmp_gt_u32_e32 vcc_lo, s4, v0
	v_cmp_gt_u32_e64 s2, s5, v1
	s_and_b32 s2, s2, vcc_lo
	s_delay_alu instid0(SALU_CYCLE_1)
	s_and_saveexec_b32 s4, s2
	s_cbranch_execz .LBB14_14
; %bb.1:
	s_load_b64 s[4:5], s[0:1], 0x3c
	s_wait_kmcnt 0x0
	s_cmp_lt_i32 s4, 0x7a
	s_cbranch_scc1 .LBB14_4
; %bb.2:
	s_cmp_gt_i32 s4, 0x7a
	s_cbranch_scc0 .LBB14_5
; %bb.3:
	s_cmp_lg_u32 s4, 0x7b
	s_mov_b32 s6, -1
	s_cselect_b32 s7, -1, 0
	s_cbranch_execz .LBB14_6
	s_branch .LBB14_7
.LBB14_4:
	s_mov_b32 s7, 0
	s_mov_b32 s6, 0
	s_cbranch_execnz .LBB14_8
	s_branch .LBB14_10
.LBB14_5:
	s_mov_b32 s6, 0
	s_mov_b32 s7, 0
.LBB14_6:
	v_cmp_gt_u32_e32 vcc_lo, v0, v1
	v_cmp_le_u32_e64 s2, v0, v1
	s_and_not1_b32 s6, s6, exec_lo
	s_and_not1_b32 s7, s7, exec_lo
	s_and_b32 s8, vcc_lo, exec_lo
	s_and_b32 s2, s2, exec_lo
	s_or_b32 s6, s6, s8
	s_or_b32 s7, s7, s2
.LBB14_7:
	s_branch .LBB14_10
.LBB14_8:
	s_cmp_eq_u32 s4, 0x79
	s_mov_b32 s7, -1
	s_cbranch_scc0 .LBB14_10
; %bb.9:
	v_cmp_gt_u32_e32 vcc_lo, v1, v0
	v_cmp_le_u32_e64 s2, v1, v0
	s_and_not1_b32 s4, s6, exec_lo
	s_and_b32 s6, vcc_lo, exec_lo
	s_or_not1_b32 s7, s2, exec_lo
	s_or_b32 s6, s4, s6
.LBB14_10:
	s_and_saveexec_b32 s2, s7
; %bb.11:
	v_cmp_eq_u32_e32 vcc_lo, v0, v1
	s_cmp_eq_u32 s5, 0x83
	s_cselect_b32 s4, -1, 0
	s_and_not1_b32 s5, s6, exec_lo
	s_and_b32 s4, s4, vcc_lo
	s_delay_alu instid0(SALU_CYCLE_1) | instskip(NEXT) | instid1(SALU_CYCLE_1)
	s_and_b32 s4, s4, exec_lo
	s_or_b32 s6, s5, s4
; %bb.12:
	s_or_b32 exec_lo, exec_lo, s2
	s_delay_alu instid0(SALU_CYCLE_1)
	s_and_b32 exec_lo, exec_lo, s6
	s_cbranch_execz .LBB14_14
; %bb.13:
	s_load_b256 s[4:11], s[0:1], 0x8
	s_bfe_u32 s2, ttmp6, 0x40014
	s_lshr_b32 s12, ttmp7, 16
	s_add_co_i32 s2, s2, 1
	s_bfe_u32 s14, ttmp6, 0x40008
	s_mul_i32 s2, s12, s2
	s_mov_b32 s13, 0
	s_add_co_i32 s14, s14, s2
	s_wait_kmcnt 0x0
	s_ashr_i32 s15, s6, 31
	s_cmp_eq_u32 s3, 0
	v_mad_u32 v2, v1, s7, v0
	s_cselect_b32 s12, s12, s14
	s_mov_b32 s14, s6
	s_mul_u64 s[2:3], s[8:9], s[12:13]
	s_delay_alu instid0(SALU_CYCLE_1) | instskip(NEXT) | instid1(SALU_CYCLE_1)
	s_lshl_b64 s[2:3], s[2:3], 3
	s_add_nc_u64 s[2:3], s[4:5], s[2:3]
	s_lshl_b64 s[4:5], s[14:15], 3
	s_delay_alu instid0(SALU_CYCLE_1)
	s_add_nc_u64 s[2:3], s[2:3], s[4:5]
	s_load_b128 s[4:7], s[0:1], 0x28
	global_load_b64 v[2:3], v2, s[2:3] scale_offset
	s_wait_kmcnt 0x0
	v_mad_u32 v0, v1, s5, v0
	s_mul_u64 s[0:1], s[6:7], s[12:13]
	s_wait_xcnt 0x0
	s_ashr_i32 s3, s4, 31
	s_lshl_b64 s[0:1], s[0:1], 3
	s_mov_b32 s2, s4
	s_add_nc_u64 s[0:1], s[10:11], s[0:1]
	s_lshl_b64 s[2:3], s[2:3], 3
	s_delay_alu instid0(SALU_CYCLE_1)
	s_add_nc_u64 s[0:1], s[0:1], s[2:3]
	s_wait_loadcnt 0x0
	global_store_b64 v0, v[2:3], s[0:1] scale_offset
.LBB14_14:
	s_endpgm
	.section	.rodata,"a",@progbits
	.p2align	6, 0x0
	.amdhsa_kernel _ZN9rocsolver6v33100L8copy_matIdPdS2_NS0_7no_maskEEEviiT0_iilT1_iilT2_13rocblas_fill_17rocblas_diagonal_
		.amdhsa_group_segment_fixed_size 0
		.amdhsa_private_segment_fixed_size 0
		.amdhsa_kernarg_size 328
		.amdhsa_user_sgpr_count 2
		.amdhsa_user_sgpr_dispatch_ptr 0
		.amdhsa_user_sgpr_queue_ptr 0
		.amdhsa_user_sgpr_kernarg_segment_ptr 1
		.amdhsa_user_sgpr_dispatch_id 0
		.amdhsa_user_sgpr_kernarg_preload_length 0
		.amdhsa_user_sgpr_kernarg_preload_offset 0
		.amdhsa_user_sgpr_private_segment_size 0
		.amdhsa_wavefront_size32 1
		.amdhsa_uses_dynamic_stack 0
		.amdhsa_enable_private_segment 0
		.amdhsa_system_sgpr_workgroup_id_x 1
		.amdhsa_system_sgpr_workgroup_id_y 1
		.amdhsa_system_sgpr_workgroup_id_z 1
		.amdhsa_system_sgpr_workgroup_info 0
		.amdhsa_system_vgpr_workitem_id 1
		.amdhsa_next_free_vgpr 4
		.amdhsa_next_free_sgpr 16
		.amdhsa_named_barrier_count 0
		.amdhsa_reserve_vcc 1
		.amdhsa_float_round_mode_32 0
		.amdhsa_float_round_mode_16_64 0
		.amdhsa_float_denorm_mode_32 3
		.amdhsa_float_denorm_mode_16_64 3
		.amdhsa_fp16_overflow 0
		.amdhsa_memory_ordered 1
		.amdhsa_forward_progress 1
		.amdhsa_inst_pref_size 5
		.amdhsa_round_robin_scheduling 0
		.amdhsa_exception_fp_ieee_invalid_op 0
		.amdhsa_exception_fp_denorm_src 0
		.amdhsa_exception_fp_ieee_div_zero 0
		.amdhsa_exception_fp_ieee_overflow 0
		.amdhsa_exception_fp_ieee_underflow 0
		.amdhsa_exception_fp_ieee_inexact 0
		.amdhsa_exception_int_div_zero 0
	.end_amdhsa_kernel
	.section	.text._ZN9rocsolver6v33100L8copy_matIdPdS2_NS0_7no_maskEEEviiT0_iilT1_iilT2_13rocblas_fill_17rocblas_diagonal_,"axG",@progbits,_ZN9rocsolver6v33100L8copy_matIdPdS2_NS0_7no_maskEEEviiT0_iilT1_iilT2_13rocblas_fill_17rocblas_diagonal_,comdat
.Lfunc_end14:
	.size	_ZN9rocsolver6v33100L8copy_matIdPdS2_NS0_7no_maskEEEviiT0_iilT1_iilT2_13rocblas_fill_17rocblas_diagonal_, .Lfunc_end14-_ZN9rocsolver6v33100L8copy_matIdPdS2_NS0_7no_maskEEEviiT0_iilT1_iilT2_13rocblas_fill_17rocblas_diagonal_
                                        ; -- End function
	.set _ZN9rocsolver6v33100L8copy_matIdPdS2_NS0_7no_maskEEEviiT0_iilT1_iilT2_13rocblas_fill_17rocblas_diagonal_.num_vgpr, 4
	.set _ZN9rocsolver6v33100L8copy_matIdPdS2_NS0_7no_maskEEEviiT0_iilT1_iilT2_13rocblas_fill_17rocblas_diagonal_.num_agpr, 0
	.set _ZN9rocsolver6v33100L8copy_matIdPdS2_NS0_7no_maskEEEviiT0_iilT1_iilT2_13rocblas_fill_17rocblas_diagonal_.numbered_sgpr, 16
	.set _ZN9rocsolver6v33100L8copy_matIdPdS2_NS0_7no_maskEEEviiT0_iilT1_iilT2_13rocblas_fill_17rocblas_diagonal_.num_named_barrier, 0
	.set _ZN9rocsolver6v33100L8copy_matIdPdS2_NS0_7no_maskEEEviiT0_iilT1_iilT2_13rocblas_fill_17rocblas_diagonal_.private_seg_size, 0
	.set _ZN9rocsolver6v33100L8copy_matIdPdS2_NS0_7no_maskEEEviiT0_iilT1_iilT2_13rocblas_fill_17rocblas_diagonal_.uses_vcc, 1
	.set _ZN9rocsolver6v33100L8copy_matIdPdS2_NS0_7no_maskEEEviiT0_iilT1_iilT2_13rocblas_fill_17rocblas_diagonal_.uses_flat_scratch, 0
	.set _ZN9rocsolver6v33100L8copy_matIdPdS2_NS0_7no_maskEEEviiT0_iilT1_iilT2_13rocblas_fill_17rocblas_diagonal_.has_dyn_sized_stack, 0
	.set _ZN9rocsolver6v33100L8copy_matIdPdS2_NS0_7no_maskEEEviiT0_iilT1_iilT2_13rocblas_fill_17rocblas_diagonal_.has_recursion, 0
	.set _ZN9rocsolver6v33100L8copy_matIdPdS2_NS0_7no_maskEEEviiT0_iilT1_iilT2_13rocblas_fill_17rocblas_diagonal_.has_indirect_call, 0
	.section	.AMDGPU.csdata,"",@progbits
; Kernel info:
; codeLenInByte = 588
; TotalNumSgprs: 18
; NumVgprs: 4
; ScratchSize: 0
; MemoryBound: 0
; FloatMode: 240
; IeeeMode: 1
; LDSByteSize: 0 bytes/workgroup (compile time only)
; SGPRBlocks: 0
; VGPRBlocks: 0
; NumSGPRsForWavesPerEU: 18
; NumVGPRsForWavesPerEU: 4
; NamedBarCnt: 0
; Occupancy: 16
; WaveLimiterHint : 0
; COMPUTE_PGM_RSRC2:SCRATCH_EN: 0
; COMPUTE_PGM_RSRC2:USER_SGPR: 2
; COMPUTE_PGM_RSRC2:TRAP_HANDLER: 0
; COMPUTE_PGM_RSRC2:TGID_X_EN: 1
; COMPUTE_PGM_RSRC2:TGID_Y_EN: 1
; COMPUTE_PGM_RSRC2:TGID_Z_EN: 1
; COMPUTE_PGM_RSRC2:TIDIG_COMP_CNT: 1
	.section	.text._ZN9rocsolver6v33100L18stebz_case1_kernelIdPdEEv15rocblas_erange_T_S4_T0_ilPiS6_PS4_lS6_lS6_li,"axG",@progbits,_ZN9rocsolver6v33100L18stebz_case1_kernelIdPdEEv15rocblas_erange_T_S4_T0_ilPiS6_PS4_lS6_lS6_li,comdat
	.globl	_ZN9rocsolver6v33100L18stebz_case1_kernelIdPdEEv15rocblas_erange_T_S4_T0_ilPiS6_PS4_lS6_lS6_li ; -- Begin function _ZN9rocsolver6v33100L18stebz_case1_kernelIdPdEEv15rocblas_erange_T_S4_T0_ilPiS6_PS4_lS6_lS6_li
	.p2align	8
	.type	_ZN9rocsolver6v33100L18stebz_case1_kernelIdPdEEv15rocblas_erange_T_S4_T0_ilPiS6_PS4_lS6_lS6_li,@function
_ZN9rocsolver6v33100L18stebz_case1_kernelIdPdEEv15rocblas_erange_T_S4_T0_ilPiS6_PS4_lS6_lS6_li: ; @_ZN9rocsolver6v33100L18stebz_case1_kernelIdPdEEv15rocblas_erange_T_S4_T0_ilPiS6_PS4_lS6_lS6_li
; %bb.0:
	s_clause 0x1
	s_load_b32 s2, s[0:1], 0x84
	s_load_b32 s3, s[0:1], 0x70
	s_bfe_u32 s4, ttmp6, 0x4000c
	s_and_b32 s5, ttmp6, 15
	s_add_co_i32 s4, s4, 1
	s_getreg_b32 s6, hwreg(HW_REG_IB_STS2, 6, 4)
	s_mul_i32 s4, ttmp9, s4
	s_delay_alu instid0(SALU_CYCLE_1) | instskip(SKIP_4) | instid1(SALU_CYCLE_1)
	s_add_co_i32 s5, s5, s4
	s_wait_kmcnt 0x0
	s_and_b32 s2, s2, 0xffff
	s_cmp_eq_u32 s6, 0
	s_cselect_b32 s4, ttmp9, s5
	v_mad_u32 v0, s4, s2, v0
	s_mov_b32 s2, 0
	s_delay_alu instid0(VALU_DEP_1)
	v_cmp_gt_i32_e32 vcc_lo, s3, v0
	s_and_saveexec_b32 s3, vcc_lo
	s_cbranch_execz .LBB15_5
; %bb.1:
	s_load_b512 s[4:19], s[0:1], 0x28
	v_dual_mov_b32 v6, 1 :: v_dual_ashrrev_i32 v1, 31, v0
	s_clause 0x1
	s_load_b96 s[20:22], s[0:1], 0x18
	s_load_b32 s3, s[0:1], 0x0
	s_wait_kmcnt 0x0
	v_mul_u64_e32 v[2:3], s[4:5], v[0:1]
	global_store_b32 v0, v6, s[8:9] scale_offset
	s_ashr_i32 s5, s22, 31
	s_mov_b32 s4, s22
	s_cmp_lg_u32 s3, 0xe8
	s_cselect_b32 s3, -1, 0
	s_delay_alu instid0(SALU_CYCLE_1) | instskip(SKIP_1) | instid1(VALU_DEP_1)
	s_and_b32 vcc_lo, exec_lo, s3
	v_lshl_add_u64 v[2:3], v[2:3], 3, s[20:21]
	v_lshl_add_u64 v[2:3], s[4:5], 3, v[2:3]
	s_load_b64 s[4:5], s[0:1], 0x68
	global_load_b64 v[2:3], v[2:3], off
	s_wait_kmcnt 0x0
	v_mul_u64_e32 v[4:5], s[4:5], v[0:1]
	s_delay_alu instid0(VALU_DEP_1)
	v_lshl_add_u64 v[4:5], v[4:5], 2, s[18:19]
	global_store_b32 v[4:5], v6, off
	s_cbranch_vccz .LBB15_6
; %bb.2:
	s_wait_xcnt 0x0
	v_lshl_add_u64 v[4:5], v[0:1], 2, s[6:7]
	s_and_saveexec_b32 s0, s3
	s_delay_alu instid0(SALU_CYCLE_1)
	s_xor_b32 s0, exec_lo, s0
	s_cbranch_execnz .LBB15_7
.LBB15_3:
	s_or_b32 exec_lo, exec_lo, s0
	s_delay_alu instid0(SALU_CYCLE_1)
	s_and_b32 exec_lo, exec_lo, s2
	s_cbranch_execz .LBB15_5
.LBB15_4:
	v_mov_b32_e32 v0, 0
	global_store_b32 v[4:5], v0, off
.LBB15_5:
	s_endpgm
.LBB15_6:
	s_load_b128 s[20:23], s[0:1], 0x8
	s_wait_xcnt 0x0
	s_and_not1_b32 s1, s3, exec_lo
	s_mov_b32 s2, -1
	s_wait_loadcnt 0x0
	s_wait_kmcnt 0x0
	v_cmp_nge_f64_e32 vcc_lo, s[20:21], v[2:3]
	v_cmp_nlt_f64_e64 s0, s[22:23], v[2:3]
	s_and_b32 s0, vcc_lo, s0
	s_delay_alu instid0(SALU_CYCLE_1) | instskip(NEXT) | instid1(SALU_CYCLE_1)
	s_and_b32 s0, s0, exec_lo
	s_or_b32 s3, s1, s0
	v_lshl_add_u64 v[4:5], v[0:1], 2, s[6:7]
	s_and_saveexec_b32 s0, s3
	s_delay_alu instid0(SALU_CYCLE_1)
	s_xor_b32 s0, exec_lo, s0
	s_cbranch_execz .LBB15_3
.LBB15_7:
	v_mul_u64_e32 v[6:7], s[12:13], v[0:1]
	v_mul_u64_e32 v[0:1], s[16:17], v[0:1]
	v_mov_b32_e32 v8, 1
	s_and_not1_b32 s2, s2, exec_lo
	s_delay_alu instid0(VALU_DEP_3) | instskip(NEXT) | instid1(VALU_DEP_3)
	v_lshl_add_u64 v[6:7], v[6:7], 3, s[10:11]
	v_lshl_add_u64 v[0:1], v[0:1], 2, s[14:15]
	global_store_b32 v[4:5], v8, off
	s_wait_loadcnt 0x0
	global_store_b64 v[6:7], v[2:3], off
	global_store_b32 v[0:1], v8, off
	s_wait_xcnt 0x0
	s_or_b32 exec_lo, exec_lo, s0
	s_delay_alu instid0(SALU_CYCLE_1)
	s_and_b32 exec_lo, exec_lo, s2
	s_cbranch_execnz .LBB15_4
	s_branch .LBB15_5
	.section	.rodata,"a",@progbits
	.p2align	6, 0x0
	.amdhsa_kernel _ZN9rocsolver6v33100L18stebz_case1_kernelIdPdEEv15rocblas_erange_T_S4_T0_ilPiS6_PS4_lS6_lS6_li
		.amdhsa_group_segment_fixed_size 0
		.amdhsa_private_segment_fixed_size 0
		.amdhsa_kernarg_size 376
		.amdhsa_user_sgpr_count 2
		.amdhsa_user_sgpr_dispatch_ptr 0
		.amdhsa_user_sgpr_queue_ptr 0
		.amdhsa_user_sgpr_kernarg_segment_ptr 1
		.amdhsa_user_sgpr_dispatch_id 0
		.amdhsa_user_sgpr_kernarg_preload_length 0
		.amdhsa_user_sgpr_kernarg_preload_offset 0
		.amdhsa_user_sgpr_private_segment_size 0
		.amdhsa_wavefront_size32 1
		.amdhsa_uses_dynamic_stack 0
		.amdhsa_enable_private_segment 0
		.amdhsa_system_sgpr_workgroup_id_x 1
		.amdhsa_system_sgpr_workgroup_id_y 0
		.amdhsa_system_sgpr_workgroup_id_z 0
		.amdhsa_system_sgpr_workgroup_info 0
		.amdhsa_system_vgpr_workitem_id 0
		.amdhsa_next_free_vgpr 9
		.amdhsa_next_free_sgpr 24
		.amdhsa_named_barrier_count 0
		.amdhsa_reserve_vcc 1
		.amdhsa_float_round_mode_32 0
		.amdhsa_float_round_mode_16_64 0
		.amdhsa_float_denorm_mode_32 3
		.amdhsa_float_denorm_mode_16_64 3
		.amdhsa_fp16_overflow 0
		.amdhsa_memory_ordered 1
		.amdhsa_forward_progress 1
		.amdhsa_inst_pref_size 4
		.amdhsa_round_robin_scheduling 0
		.amdhsa_exception_fp_ieee_invalid_op 0
		.amdhsa_exception_fp_denorm_src 0
		.amdhsa_exception_fp_ieee_div_zero 0
		.amdhsa_exception_fp_ieee_overflow 0
		.amdhsa_exception_fp_ieee_underflow 0
		.amdhsa_exception_fp_ieee_inexact 0
		.amdhsa_exception_int_div_zero 0
	.end_amdhsa_kernel
	.section	.text._ZN9rocsolver6v33100L18stebz_case1_kernelIdPdEEv15rocblas_erange_T_S4_T0_ilPiS6_PS4_lS6_lS6_li,"axG",@progbits,_ZN9rocsolver6v33100L18stebz_case1_kernelIdPdEEv15rocblas_erange_T_S4_T0_ilPiS6_PS4_lS6_lS6_li,comdat
.Lfunc_end15:
	.size	_ZN9rocsolver6v33100L18stebz_case1_kernelIdPdEEv15rocblas_erange_T_S4_T0_ilPiS6_PS4_lS6_lS6_li, .Lfunc_end15-_ZN9rocsolver6v33100L18stebz_case1_kernelIdPdEEv15rocblas_erange_T_S4_T0_ilPiS6_PS4_lS6_lS6_li
                                        ; -- End function
	.set _ZN9rocsolver6v33100L18stebz_case1_kernelIdPdEEv15rocblas_erange_T_S4_T0_ilPiS6_PS4_lS6_lS6_li.num_vgpr, 9
	.set _ZN9rocsolver6v33100L18stebz_case1_kernelIdPdEEv15rocblas_erange_T_S4_T0_ilPiS6_PS4_lS6_lS6_li.num_agpr, 0
	.set _ZN9rocsolver6v33100L18stebz_case1_kernelIdPdEEv15rocblas_erange_T_S4_T0_ilPiS6_PS4_lS6_lS6_li.numbered_sgpr, 24
	.set _ZN9rocsolver6v33100L18stebz_case1_kernelIdPdEEv15rocblas_erange_T_S4_T0_ilPiS6_PS4_lS6_lS6_li.num_named_barrier, 0
	.set _ZN9rocsolver6v33100L18stebz_case1_kernelIdPdEEv15rocblas_erange_T_S4_T0_ilPiS6_PS4_lS6_lS6_li.private_seg_size, 0
	.set _ZN9rocsolver6v33100L18stebz_case1_kernelIdPdEEv15rocblas_erange_T_S4_T0_ilPiS6_PS4_lS6_lS6_li.uses_vcc, 1
	.set _ZN9rocsolver6v33100L18stebz_case1_kernelIdPdEEv15rocblas_erange_T_S4_T0_ilPiS6_PS4_lS6_lS6_li.uses_flat_scratch, 0
	.set _ZN9rocsolver6v33100L18stebz_case1_kernelIdPdEEv15rocblas_erange_T_S4_T0_ilPiS6_PS4_lS6_lS6_li.has_dyn_sized_stack, 0
	.set _ZN9rocsolver6v33100L18stebz_case1_kernelIdPdEEv15rocblas_erange_T_S4_T0_ilPiS6_PS4_lS6_lS6_li.has_recursion, 0
	.set _ZN9rocsolver6v33100L18stebz_case1_kernelIdPdEEv15rocblas_erange_T_S4_T0_ilPiS6_PS4_lS6_lS6_li.has_indirect_call, 0
	.section	.AMDGPU.csdata,"",@progbits
; Kernel info:
; codeLenInByte = 500
; TotalNumSgprs: 26
; NumVgprs: 9
; ScratchSize: 0
; MemoryBound: 0
; FloatMode: 240
; IeeeMode: 1
; LDSByteSize: 0 bytes/workgroup (compile time only)
; SGPRBlocks: 0
; VGPRBlocks: 0
; NumSGPRsForWavesPerEU: 26
; NumVGPRsForWavesPerEU: 9
; NamedBarCnt: 0
; Occupancy: 16
; WaveLimiterHint : 0
; COMPUTE_PGM_RSRC2:SCRATCH_EN: 0
; COMPUTE_PGM_RSRC2:USER_SGPR: 2
; COMPUTE_PGM_RSRC2:TRAP_HANDLER: 0
; COMPUTE_PGM_RSRC2:TGID_X_EN: 1
; COMPUTE_PGM_RSRC2:TGID_Y_EN: 0
; COMPUTE_PGM_RSRC2:TGID_Z_EN: 0
; COMPUTE_PGM_RSRC2:TIDIG_COMP_CNT: 0
	.section	.text._ZN9rocsolver6v33100L22stebz_splitting_kernelIdPdEEv15rocblas_erange_iT_S4_iiT0_iiS5_iiPiPS4_lS6_lS6_S7_S7_S7_S7_S6_S4_S4_,"axG",@progbits,_ZN9rocsolver6v33100L22stebz_splitting_kernelIdPdEEv15rocblas_erange_iT_S4_iiT0_iiS5_iiPiPS4_lS6_lS6_S7_S7_S7_S7_S6_S4_S4_,comdat
	.globl	_ZN9rocsolver6v33100L22stebz_splitting_kernelIdPdEEv15rocblas_erange_iT_S4_iiT0_iiS5_iiPiPS4_lS6_lS6_S7_S7_S7_S7_S6_S4_S4_ ; -- Begin function _ZN9rocsolver6v33100L22stebz_splitting_kernelIdPdEEv15rocblas_erange_iT_S4_iiT0_iiS5_iiPiPS4_lS6_lS6_S7_S7_S7_S7_S6_S4_S4_
	.p2align	8
	.type	_ZN9rocsolver6v33100L22stebz_splitting_kernelIdPdEEv15rocblas_erange_iT_S4_iiT0_iiS5_iiPiPS4_lS6_lS6_S7_S7_S7_S7_S6_S4_S4_,@function
_ZN9rocsolver6v33100L22stebz_splitting_kernelIdPdEEv15rocblas_erange_iT_S4_iiT0_iiS5_iiPiPS4_lS6_lS6_S7_S7_S7_S7_S6_S4_S4_: ; @_ZN9rocsolver6v33100L22stebz_splitting_kernelIdPdEEv15rocblas_erange_iT_S4_iiT0_iiS5_iiPiPS4_lS6_lS6_S7_S7_S7_S7_S6_S4_S4_
; %bb.0:
	s_load_b64 s[34:35], s[0:1], 0x0
	s_bfe_u32 s2, ttmp6, 0x40010
	s_bfe_u32 s3, ttmp6, 0x40004
	s_add_co_i32 s2, s2, 1
	s_getreg_b32 s4, hwreg(HW_REG_IB_STS2, 6, 4)
	s_mul_i32 s2, ttmp7, s2
	v_dual_mov_b32 v2, 0 :: v_dual_lshlrev_b32 v1, 2, v0
	s_add_co_i32 s3, s3, s2
	s_cmp_eq_u32 s4, 0
	v_mov_b32_e32 v6, 0
	s_cselect_b32 s36, ttmp7, s3
	s_mov_b32 s6, -1
	s_wait_kmcnt 0x0
	s_add_co_i32 s33, s35, -1
	s_delay_alu instid0(SALU_CYCLE_1) | instskip(NEXT) | instid1(SALU_CYCLE_1)
	s_ashr_i32 s2, s33, 31
	s_lshr_b32 s2, s2, 24
	s_delay_alu instid0(SALU_CYCLE_1) | instskip(NEXT) | instid1(SALU_CYCLE_1)
	s_add_co_i32 s2, s33, s2
	s_and_b32 s3, s2, 0xffffff00
	s_ashr_i32 s2, s2, 8
	s_sub_co_i32 s3, s33, s3
	s_delay_alu instid0(SALU_CYCLE_1)
	v_cmp_gt_i32_e32 vcc_lo, s3, v0
	v_add_co_ci_u32_e64 v20, null, s2, 0, vcc_lo
	v_cmp_eq_u32_e64 s2, 0, v0
	v_cmp_ne_u32_e32 vcc_lo, 0, v0
	ds_store_b32 v1, v20 offset:2048
	s_wait_dscnt 0x0
	s_barrier_signal -1
	s_barrier_wait -1
	s_and_saveexec_b32 s4, vcc_lo
	s_cbranch_execz .LBB16_16
; %bb.1:
	v_dual_mov_b32 v6, 0 :: v_dual_mov_b32 v3, 0
	s_mov_b32 s5, exec_lo
	v_cmpx_lt_u32_e32 3, v0
	s_cbranch_execz .LBB16_11
; %bb.2:
	v_dual_add_nc_u32 v3, -4, v0 :: v_dual_mov_b32 v9, 0
	v_mov_b64_e32 v[4:5], 0
	v_mov_b64_e32 v[6:7], 0
	s_delay_alu instid0(VALU_DEP_3) | instskip(SKIP_1) | instid1(VALU_DEP_2)
	v_lshrrev_b32_e32 v8, 2, v3
	v_cmp_lt_u32_e64 s3, 27, v3
	v_add_nc_u32_e32 v3, 1, v8
	s_and_saveexec_b32 s6, s3
	s_cbranch_execz .LBB16_6
; %bb.3:
	s_delay_alu instid0(VALU_DEP_1)
	v_and_b32_e32 v8, 0x7ffffff8, v3
	v_dual_mov_b32 v7, 0 :: v_dual_mov_b32 v6, 0
	v_dual_mov_b32 v5, 0 :: v_dual_mov_b32 v4, 0
	s_movk_i32 s8, 0x800
	s_mov_b32 s7, 0
	s_mov_b32 s9, 0
.LBB16_4:                               ; =>This Inner Loop Header: Depth=1
	v_mov_b32_e32 v9, s8
	s_add_co_i32 s9, s9, 32
	s_addk_co_i32 s8, 0x80
	ds_load_b128 v[10:13], v9
	ds_load_b128 v[14:17], v9 offset:16
	ds_load_b128 v[22:25], v9 offset:32
	;; [unrolled: 1-line block ×4, first 2 shown]
	v_add_nc_u32_e32 v8, -8, v8
	s_delay_alu instid0(VALU_DEP_1)
	v_cmp_eq_u32_e64 s3, 0, v8
	s_or_b32 s7, s3, s7
	s_wait_dscnt 0x4
	v_dual_add_nc_u32 v11, v11, v7 :: v_dual_add_nc_u32 v10, v10, v6
	v_dual_add_nc_u32 v13, v13, v5 :: v_dual_add_nc_u32 v12, v12, v4
	ds_load_b128 v[4:7], v9 offset:80
	s_wait_dscnt 0x4
	v_dual_add_nc_u32 v15, v15, v11 :: v_dual_add_nc_u32 v14, v14, v10
	v_dual_add_nc_u32 v17, v17, v13 :: v_dual_add_nc_u32 v16, v16, v12
	ds_load_b128 v[10:13], v9 offset:96
	s_wait_dscnt 0x4
	v_dual_add_nc_u32 v18, v23, v15 :: v_dual_add_nc_u32 v19, v22, v14
	v_dual_add_nc_u32 v21, v25, v17 :: v_dual_add_nc_u32 v22, v24, v16
	ds_load_b128 v[14:17], v9 offset:112
	s_wait_dscnt 0x4
	v_dual_add_nc_u32 v9, v27, v18 :: v_dual_add_nc_u32 v18, v26, v19
	v_dual_add_nc_u32 v19, v29, v21 :: v_dual_add_nc_u32 v21, v28, v22
	s_wait_dscnt 0x3
	s_delay_alu instid0(VALU_DEP_2) | instskip(NEXT) | instid1(VALU_DEP_2)
	v_dual_add_nc_u32 v9, v31, v9 :: v_dual_add_nc_u32 v18, v30, v18
	v_dual_add_nc_u32 v19, v33, v19 :: v_dual_add_nc_u32 v21, v32, v21
	s_wait_dscnt 0x2
	s_delay_alu instid0(VALU_DEP_2) | instskip(NEXT) | instid1(VALU_DEP_2)
	;; [unrolled: 4-line block ×3, first 2 shown]
	v_dual_mov_b32 v9, s9 :: v_dual_add_nc_u32 v5, v11, v5
	v_dual_add_nc_u32 v4, v10, v4 :: v_dual_add_nc_u32 v10, v13, v7
	s_wait_dscnt 0x0
	s_delay_alu instid0(VALU_DEP_2) | instskip(NEXT) | instid1(VALU_DEP_2)
	v_dual_add_nc_u32 v11, v12, v6 :: v_dual_add_nc_u32 v7, v15, v5
	v_dual_add_nc_u32 v6, v14, v4 :: v_dual_add_nc_u32 v5, v17, v10
	s_delay_alu instid0(VALU_DEP_2)
	v_add_nc_u32_e32 v4, v16, v11
	s_and_not1_b32 exec_lo, exec_lo, s7
	s_cbranch_execnz .LBB16_4
; %bb.5:
	s_or_b32 exec_lo, exec_lo, s7
.LBB16_6:
	s_delay_alu instid0(SALU_CYCLE_1) | instskip(NEXT) | instid1(VALU_DEP_1)
	s_or_b32 exec_lo, exec_lo, s6
	v_and_b32_e32 v3, 7, v3
	s_mov_b32 s7, 0
	s_mov_b32 s6, exec_lo
	s_delay_alu instid0(VALU_DEP_1)
	v_cmpx_ne_u32_e32 0, v3
	s_cbranch_execz .LBB16_10
; %bb.7:
	v_lshl_add_u32 v8, v9, 2, 0x800
.LBB16_8:                               ; =>This Inner Loop Header: Depth=1
	ds_load_b128 v[10:13], v8
	v_dual_add_nc_u32 v3, -1, v3 :: v_dual_add_nc_u32 v8, 16, v8
	s_delay_alu instid0(VALU_DEP_1)
	v_cmp_eq_u32_e64 s3, 0, v3
	s_or_b32 s7, s3, s7
	s_wait_dscnt 0x0
	v_dual_add_nc_u32 v7, v11, v7 :: v_dual_add_nc_u32 v6, v10, v6
	v_dual_add_nc_u32 v5, v13, v5 :: v_dual_add_nc_u32 v4, v12, v4
	s_and_not1_b32 exec_lo, exec_lo, s7
	s_cbranch_execnz .LBB16_8
; %bb.9:
	s_or_b32 exec_lo, exec_lo, s7
.LBB16_10:
	s_delay_alu instid0(SALU_CYCLE_1) | instskip(SKIP_2) | instid1(VALU_DEP_2)
	s_or_b32 exec_lo, exec_lo, s6
	v_and_b32_e32 v3, 0xfc, v0
	v_add_nc_u32_e32 v5, v5, v7
	v_cmp_ne_u32_e64 s3, v0, v3
	s_delay_alu instid0(VALU_DEP_2)
	v_add3_u32 v6, v4, v6, v5
	s_or_not1_b32 s6, s3, exec_lo
.LBB16_11:
	s_or_b32 exec_lo, exec_lo, s5
	s_and_saveexec_b32 s5, s6
	s_cbranch_execz .LBB16_15
; %bb.12:
	v_sub_nc_u32_e32 v4, v0, v3
	v_lshl_or_b32 v3, v3, 2, 0x800
	s_mov_b32 s6, 0
.LBB16_13:                              ; =>This Inner Loop Header: Depth=1
	ds_load_b32 v5, v3
	v_dual_add_nc_u32 v4, -1, v4 :: v_dual_add_nc_u32 v3, 4, v3
	s_delay_alu instid0(VALU_DEP_1)
	v_cmp_eq_u32_e64 s3, 0, v4
	s_or_b32 s6, s3, s6
	s_wait_dscnt 0x0
	v_add_nc_u32_e32 v6, v5, v6
	s_and_not1_b32 exec_lo, exec_lo, s6
	s_cbranch_execnz .LBB16_13
; %bb.14:
	s_or_b32 exec_lo, exec_lo, s6
.LBB16_15:
	s_delay_alu instid0(SALU_CYCLE_1)
	s_or_b32 exec_lo, exec_lo, s5
.LBB16_16:
	s_delay_alu instid0(SALU_CYCLE_1)
	s_or_b32 exec_lo, exec_lo, s4
	s_clause 0x3
	s_load_b128 s[28:31], s[0:1], 0x20
	s_load_b512 s[4:19], s[0:1], 0x40
	s_load_b64 s[38:39], s[0:1], 0xa0
	s_load_b256 s[20:27], s[0:1], 0x80
	s_mul_i32 s42, s35, s36
	v_ashrrev_i32_e32 v7, 31, v6
	s_ashr_i32 s43, s42, 31
	s_ashr_i32 s37, s36, 31
	s_lshl_b64 s[44:45], s[42:43], 2
	s_mul_i32 s40, s33, s36
	s_delay_alu instid0(SALU_CYCLE_1)
	s_ashr_i32 s41, s40, 31
	s_wait_kmcnt 0x0
	s_ashr_i32 s47, s31, 31
	s_add_nc_u64 s[14:15], s[14:15], s[44:45]
	s_mov_b32 s46, s31
	v_lshl_add_u64 v[4:5], v[6:7], 2, s[14:15]
	s_ashr_i32 s43, s30, 31
	s_mov_b32 s42, s30
	s_mul_u64 s[14:15], s[46:47], s[36:37]
	s_mul_u64 s[8:9], s[8:9], s[36:37]
	s_mov_b32 s30, exec_lo
	v_cmpx_lt_i32_e32 0, v20
	s_cbranch_execz .LBB16_22
; %bb.17:
	s_load_b128 s[44:47], s[0:1], 0x30
	s_lshl_b64 s[48:49], s[14:15], 3
	s_lshl_b64 s[50:51], s[42:43], 3
	s_lshl_b64 s[52:53], s[40:41], 3
	s_lshl_b64 s[54:55], s[8:9], 3
	s_add_nc_u64 s[48:49], s[48:49], s[50:51]
	s_add_nc_u64 s[50:51], s[18:19], s[52:53]
	;; [unrolled: 1-line block ×3, first 2 shown]
	v_lshlrev_b64_e32 v[2:3], 3, v[6:7]
	s_add_nc_u64 s[48:49], s[28:29], s[48:49]
	s_mov_b32 s31, 0
	s_delay_alu instid0(VALU_DEP_1)
	v_add_nc_u64_e32 v[8:9], s[48:49], v[2:3]
	v_add_nc_u64_e32 v[10:11], s[50:51], v[2:3]
	;; [unrolled: 1-line block ×3, first 2 shown]
	s_wait_kmcnt 0x0
	s_ashr_i32 s57, s47, 31
	s_mov_b32 s56, s47
	s_ashr_i32 s55, s46, 31
	s_mov_b32 s54, s46
	s_mul_u64 s[46:47], s[36:37], s[56:57]
	s_lshl_b64 s[54:55], s[54:55], 3
	s_lshl_b64 s[46:47], s[46:47], 3
	s_delay_alu instid0(SALU_CYCLE_1) | instskip(NEXT) | instid1(SALU_CYCLE_1)
	s_add_nc_u64 s[46:47], s[46:47], s[54:55]
	s_add_nc_u64 s[44:45], s[44:45], s[46:47]
	s_delay_alu instid0(SALU_CYCLE_1)
	v_add_nc_u64_e32 v[12:13], s[44:45], v[2:3]
	v_mov_b32_e32 v2, 0
	s_branch .LBB16_19
.LBB16_18:                              ;   in Loop: Header=BB16_19 Depth=1
	s_wait_xcnt 0x0
	s_or_b32 exec_lo, exec_lo, s44
	v_dual_add_nc_u32 v20, -1, v20 :: v_dual_add_nc_u32 v6, 1, v6
	global_store_b64 v[10:11], v[18:19], off
	global_store_b64 v[14:15], v[16:17], off
	v_add_nc_u64_e32 v[12:13], 8, v[12:13]
	v_add_nc_u64_e32 v[8:9], 8, v[8:9]
	s_wait_xcnt 0x1
	v_add_nc_u64_e32 v[10:11], 8, v[10:11]
	v_cmp_eq_u32_e64 s3, 0, v20
	s_wait_xcnt 0x0
	v_add_nc_u64_e32 v[14:15], 8, v[14:15]
	s_or_b32 s31, s3, s31
	s_delay_alu instid0(SALU_CYCLE_1)
	s_and_not1_b32 exec_lo, exec_lo, s31
	s_cbranch_execz .LBB16_21
.LBB16_19:                              ; =>This Inner Loop Header: Depth=1
	global_load_b128 v[22:25], v[8:9], off
	global_load_b64 v[16:17], v[12:13], off
	s_mov_b32 s44, exec_lo
	s_wait_loadcnt 0x1
	v_mul_f64_e32 v[18:19], v[22:23], v[24:25]
	s_delay_alu instid0(VALU_DEP_1) | instskip(SKIP_2) | instid1(VALU_DEP_2)
	v_mul_f64_e64 v[22:23], s[26:27], |v[18:19]|
	s_wait_loadcnt 0x0
	v_mul_f64_e32 v[18:19], v[16:17], v[16:17]
	v_fma_f64 v[22:23], s[26:27], v[22:23], s[38:39]
	s_wait_xcnt 0x0
	s_delay_alu instid0(VALU_DEP_1)
	v_cmpx_gt_f64_e32 v[22:23], v[18:19]
	s_cbranch_execz .LBB16_18
; %bb.20:                               ;   in Loop: Header=BB16_19 Depth=1
	v_dual_ashrrev_i32 v3, 31, v2 :: v_dual_add_nc_u32 v7, 1, v2
	v_mov_b64_e32 v[18:19], 0
	v_mov_b64_e32 v[16:17], 0
	s_delay_alu instid0(VALU_DEP_3) | instskip(NEXT) | instid1(VALU_DEP_4)
	v_lshl_add_u64 v[22:23], v[2:3], 2, v[4:5]
	v_mov_b32_e32 v2, v7
	global_store_b32 v[22:23], v6, off
	s_branch .LBB16_18
.LBB16_21:
	s_or_b32 exec_lo, exec_lo, s31
.LBB16_22:
	s_delay_alu instid0(SALU_CYCLE_1)
	s_or_b32 exec_lo, exec_lo, s30
	v_or_b32_e32 v1, 0x800, v1
	v_mov_b32_e32 v6, 0
	ds_store_b32 v1, v2
	s_wait_storecnt_dscnt 0x0
	s_barrier_signal -1
	s_barrier_wait -1
	s_and_saveexec_b32 s3, vcc_lo
	s_cbranch_execz .LBB16_38
; %bb.23:
	v_dual_mov_b32 v6, 0 :: v_dual_mov_b32 v3, 0
	s_mov_b32 s31, -1
	s_mov_b32 s30, exec_lo
	v_cmpx_lt_u32_e32 3, v0
	s_cbranch_execz .LBB16_33
; %bb.24:
	v_dual_add_nc_u32 v3, -4, v0 :: v_dual_mov_b32 v11, 0
	v_mov_b64_e32 v[6:7], 0
	v_mov_b64_e32 v[8:9], 0
	s_delay_alu instid0(VALU_DEP_3) | instskip(SKIP_1) | instid1(VALU_DEP_2)
	v_lshrrev_b32_e32 v10, 2, v3
	v_cmp_lt_u32_e32 vcc_lo, 27, v3
	v_add_nc_u32_e32 v3, 1, v10
	s_and_saveexec_b32 s31, vcc_lo
	s_cbranch_execz .LBB16_28
; %bb.25:
	s_delay_alu instid0(VALU_DEP_1)
	v_and_b32_e32 v10, 0x7ffffff8, v3
	v_dual_mov_b32 v9, 0 :: v_dual_mov_b32 v8, 0
	v_dual_mov_b32 v7, 0 :: v_dual_mov_b32 v6, 0
	s_movk_i32 s45, 0x800
	s_mov_b32 s44, 0
	s_mov_b32 s46, 0
.LBB16_26:                              ; =>This Inner Loop Header: Depth=1
	v_mov_b32_e32 v11, s45
	s_add_co_i32 s46, s46, 32
	s_addk_co_i32 s45, 0x80
	ds_load_b128 v[12:15], v11
	ds_load_b128 v[16:19], v11 offset:16
	ds_load_b128 v[20:23], v11 offset:32
	;; [unrolled: 1-line block ×4, first 2 shown]
	s_wait_dscnt 0x4
	v_dual_add_nc_u32 v13, v13, v9 :: v_dual_add_nc_u32 v12, v12, v8
	v_dual_add_nc_u32 v15, v15, v7 :: v_dual_add_nc_u32 v14, v14, v6
	ds_load_b128 v[6:9], v11 offset:80
	s_wait_dscnt 0x4
	v_dual_add_nc_u32 v17, v17, v13 :: v_dual_add_nc_u32 v16, v16, v12
	v_dual_add_nc_u32 v19, v19, v15 :: v_dual_add_nc_u32 v18, v18, v14
	ds_load_b128 v[12:15], v11 offset:96
	;; [unrolled: 4-line block ×3, first 2 shown]
	s_wait_dscnt 0x4
	v_dual_add_nc_u32 v11, v25, v21 :: v_dual_add_nc_u32 v20, v24, v20
	v_dual_add_nc_u32 v21, v27, v23 :: v_dual_add_nc_u32 v22, v26, v22
	s_wait_dscnt 0x3
	s_delay_alu instid0(VALU_DEP_2) | instskip(NEXT) | instid1(VALU_DEP_2)
	v_dual_add_nc_u32 v11, v29, v11 :: v_dual_add_nc_u32 v20, v28, v20
	v_dual_add_nc_u32 v21, v31, v21 :: v_dual_add_nc_u32 v22, v30, v22
	s_wait_dscnt 0x2
	s_delay_alu instid0(VALU_DEP_2) | instskip(NEXT) | instid1(VALU_DEP_2)
	v_dual_add_nc_u32 v10, -8, v10 :: v_dual_add_nc_u32 v7, v7, v11
	v_dual_add_nc_u32 v6, v6, v20 :: v_dual_add_nc_u32 v9, v9, v21
	s_delay_alu instid0(VALU_DEP_3) | instskip(SKIP_1) | instid1(VALU_DEP_2)
	v_dual_mov_b32 v11, s46 :: v_dual_add_nc_u32 v8, v8, v22
	s_wait_dscnt 0x1
	v_dual_add_nc_u32 v7, v13, v7 :: v_dual_add_nc_u32 v6, v12, v6
	s_delay_alu instid0(VALU_DEP_2) | instskip(SKIP_2) | instid1(VALU_DEP_3)
	v_dual_add_nc_u32 v12, v15, v9 :: v_dual_add_nc_u32 v13, v14, v8
	v_cmp_eq_u32_e32 vcc_lo, 0, v10
	s_wait_dscnt 0x0
	v_dual_add_nc_u32 v9, v17, v7 :: v_dual_add_nc_u32 v8, v16, v6
	s_delay_alu instid0(VALU_DEP_3) | instskip(SKIP_1) | instid1(SALU_CYCLE_1)
	v_dual_add_nc_u32 v7, v19, v12 :: v_dual_add_nc_u32 v6, v18, v13
	s_or_b32 s44, vcc_lo, s44
	s_and_not1_b32 exec_lo, exec_lo, s44
	s_cbranch_execnz .LBB16_26
; %bb.27:
	s_or_b32 exec_lo, exec_lo, s44
.LBB16_28:
	s_delay_alu instid0(SALU_CYCLE_1) | instskip(NEXT) | instid1(VALU_DEP_1)
	s_or_b32 exec_lo, exec_lo, s31
	v_and_b32_e32 v3, 7, v3
	s_mov_b32 s44, 0
	s_mov_b32 s31, exec_lo
	s_delay_alu instid0(VALU_DEP_1)
	v_cmpx_ne_u32_e32 0, v3
	s_cbranch_execz .LBB16_32
; %bb.29:
	v_lshl_add_u32 v10, v11, 2, 0x800
.LBB16_30:                              ; =>This Inner Loop Header: Depth=1
	ds_load_b128 v[12:15], v10
	v_dual_add_nc_u32 v3, -1, v3 :: v_dual_add_nc_u32 v10, 16, v10
	s_delay_alu instid0(VALU_DEP_1)
	v_cmp_eq_u32_e32 vcc_lo, 0, v3
	s_or_b32 s44, vcc_lo, s44
	s_wait_dscnt 0x0
	v_dual_add_nc_u32 v9, v13, v9 :: v_dual_add_nc_u32 v8, v12, v8
	v_dual_add_nc_u32 v7, v15, v7 :: v_dual_add_nc_u32 v6, v14, v6
	s_and_not1_b32 exec_lo, exec_lo, s44
	s_cbranch_execnz .LBB16_30
; %bb.31:
	s_or_b32 exec_lo, exec_lo, s44
.LBB16_32:
	s_delay_alu instid0(SALU_CYCLE_1) | instskip(SKIP_2) | instid1(VALU_DEP_2)
	s_or_b32 exec_lo, exec_lo, s31
	v_and_b32_e32 v3, 0xfc, v0
	v_add_nc_u32_e32 v7, v7, v9
	v_cmp_ne_u32_e32 vcc_lo, v0, v3
	s_delay_alu instid0(VALU_DEP_2)
	v_add3_u32 v6, v6, v8, v7
	s_or_not1_b32 s31, vcc_lo, exec_lo
.LBB16_33:
	s_or_b32 exec_lo, exec_lo, s30
	s_and_saveexec_b32 s30, s31
	s_cbranch_execz .LBB16_37
; %bb.34:
	v_sub_nc_u32_e32 v7, v0, v3
	v_lshl_or_b32 v3, v3, 2, 0x800
	s_mov_b32 s31, 0
.LBB16_35:                              ; =>This Inner Loop Header: Depth=1
	ds_load_b32 v8, v3
	v_add_nc_u32_e32 v7, -1, v7
	s_wait_dscnt 0x0
	v_dual_add_nc_u32 v3, 4, v3 :: v_dual_add_nc_u32 v6, v8, v6
	s_delay_alu instid0(VALU_DEP_2) | instskip(SKIP_1) | instid1(SALU_CYCLE_1)
	v_cmp_eq_u32_e32 vcc_lo, 0, v7
	s_or_b32 s31, vcc_lo, s31
	s_and_not1_b32 exec_lo, exec_lo, s31
	s_cbranch_execnz .LBB16_35
; %bb.36:
	s_or_b32 exec_lo, exec_lo, s31
.LBB16_37:
	s_delay_alu instid0(SALU_CYCLE_1)
	s_or_b32 exec_lo, exec_lo, s30
.LBB16_38:
	s_delay_alu instid0(SALU_CYCLE_1)
	s_or_b32 exec_lo, exec_lo, s3
	s_mul_u64 s[12:13], s[12:13], s[36:37]
	s_mov_b32 s30, 0
	s_mov_b32 s3, exec_lo
	v_cmpx_lt_i32_e32 0, v2
	s_cbranch_execz .LBB16_41
; %bb.39:
	v_dual_ashrrev_i32 v7, 31, v6 :: v_dual_mov_b32 v3, v2
	s_lshl_b64 s[44:45], s[12:13], 2
	s_delay_alu instid0(SALU_CYCLE_1)
	s_add_nc_u64 s[44:45], s[10:11], s[44:45]
	s_delay_alu instid0(VALU_DEP_1) | instid1(SALU_CYCLE_1)
	v_lshl_add_u64 v[8:9], v[6:7], 2, s[44:45]
.LBB16_40:                              ; =>This Inner Loop Header: Depth=1
	global_load_b32 v7, v[4:5], off
	v_add_nc_u32_e32 v3, -1, v3
	s_wait_xcnt 0x0
	v_add_nc_u64_e32 v[4:5], 4, v[4:5]
	s_delay_alu instid0(VALU_DEP_2)
	v_cmp_eq_u32_e32 vcc_lo, 0, v3
	s_or_b32 s30, vcc_lo, s30
	s_wait_loadcnt 0x0
	v_add_nc_u32_e32 v7, 1, v7
	global_store_b32 v[8:9], v7, off
	s_wait_xcnt 0x0
	v_add_nc_u64_e32 v[8:9], 4, v[8:9]
	s_and_not1_b32 exec_lo, exec_lo, s30
	s_cbranch_execnz .LBB16_40
.LBB16_41:
	s_or_b32 exec_lo, exec_lo, s3
	v_cmp_eq_u32_e64 s3, 0xff, v0
	s_and_saveexec_b32 s30, s3
	s_cbranch_execz .LBB16_43
; %bb.42:
	v_dual_mov_b32 v3, 0 :: v_dual_add_nc_u32 v2, v6, v2
	v_mov_b32_e32 v4, s35
	s_lshl_b64 s[12:13], s[12:13], 2
	s_lshl_b64 s[44:45], s[36:37], 2
	s_delay_alu instid0(VALU_DEP_2)
	v_add_nc_u32_e32 v5, 1, v2
	s_add_nc_u64 s[10:11], s[10:11], s[12:13]
	s_add_nc_u64 s[4:5], s[4:5], s[44:45]
	global_store_b32 v2, v4, s[10:11] scale_offset
	global_store_b32 v3, v5, s[4:5]
.LBB16_43:
	s_wait_xcnt 0x0
	s_or_b32 exec_lo, exec_lo, s30
	v_mov_b64_e32 v[4:5], 0
	v_bfrev_b32_e32 v3, -2
	v_lshlrev_b32_e32 v2, 3, v0
	s_mov_b32 s5, exec_lo
	s_wait_storecnt 0x0
	s_barrier_signal -1
	s_barrier_wait -1
	v_cmpx_gt_i32_e64 s33, v0
	s_cbranch_execz .LBB16_47
; %bb.44:
	v_dual_mov_b32 v3, 0 :: v_dual_mov_b32 v8, v0
	s_lshl_b64 s[10:11], s[40:41], 3
	v_mov_b64_e32 v[4:5], 0
	s_add_nc_u64 s[10:11], s[18:19], s[10:11]
	s_delay_alu instid0(VALU_DEP_2) | instid1(SALU_CYCLE_1)
	v_add_nc_u64_e32 v[6:7], s[10:11], v[2:3]
	v_bfrev_b32_e32 v3, -2
	s_mov_b32 s10, 0
.LBB16_45:                              ; =>This Inner Loop Header: Depth=1
	global_load_b64 v[10:11], v[6:7], off
	v_cmp_eq_u32_e32 vcc_lo, 0x7fffffff, v3
	s_wait_xcnt 0x0
	v_add_nc_u64_e32 v[6:7], 0x800, v[6:7]
	s_wait_loadcnt 0x0
	v_cmp_lt_f64_e64 s11, v[4:5], |v[10:11]|
	v_and_b32_e32 v11, 0x7fffffff, v11
	s_or_b32 vcc_lo, s11, vcc_lo
	s_delay_alu instid0(VALU_DEP_1) | instid1(SALU_CYCLE_1)
	v_dual_add_nc_u32 v9, 1, v8 :: v_dual_cndmask_b32 v5, v5, v11, vcc_lo
	v_add_nc_u32_e32 v8, 0x100, v8
	s_delay_alu instid0(VALU_DEP_2) | instskip(NEXT) | instid1(VALU_DEP_2)
	v_dual_cndmask_b32 v4, v4, v10 :: v_dual_cndmask_b32 v3, v3, v9
	v_cmp_le_i32_e64 s4, s33, v8
	s_or_b32 s10, s4, s10
	s_delay_alu instid0(SALU_CYCLE_1)
	s_and_not1_b32 exec_lo, exec_lo, s10
	s_cbranch_execnz .LBB16_45
; %bb.46:
	s_or_b32 exec_lo, exec_lo, s10
.LBB16_47:
	s_delay_alu instid0(SALU_CYCLE_1)
	s_or_b32 exec_lo, exec_lo, s5
	s_cmp_lt_i32 s35, 3
	ds_store_b64 v2, v[4:5]
	ds_store_b32 v1, v3
	s_wait_dscnt 0x0
	s_barrier_signal -1
	s_barrier_wait -1
	s_cbranch_scc1 .LBB16_84
; %bb.48:
	s_mov_b32 s5, exec_lo
	v_cmpx_gt_u32_e32 0x80, v0
	s_cbranch_execz .LBB16_54
; %bb.49:
	ds_load_b64 v[6:7], v2 offset:1024
	ds_load_b32 v8, v1 offset:512
	s_mov_b32 s11, exec_lo
	s_wait_dscnt 0x1
	v_cmp_lt_f64_e64 s10, v[4:5], v[6:7]
	v_cmpx_nlt_f64_e32 v[4:5], v[6:7]
	s_cbranch_execz .LBB16_51
; %bb.50:
	v_cmp_eq_f64_e32 vcc_lo, v[4:5], v[6:7]
	s_wait_dscnt 0x0
	v_cmp_gt_i32_e64 s4, v3, v8
	s_and_not1_b32 s10, s10, exec_lo
	s_and_b32 s4, vcc_lo, s4
	s_delay_alu instid0(SALU_CYCLE_1) | instskip(NEXT) | instid1(SALU_CYCLE_1)
	s_and_b32 s4, s4, exec_lo
	s_or_b32 s10, s10, s4
.LBB16_51:
	s_or_b32 exec_lo, exec_lo, s11
	s_and_saveexec_b32 s4, s10
	s_cbranch_execz .LBB16_53
; %bb.52:
	v_mov_b64_e32 v[4:5], v[6:7]
	s_wait_dscnt 0x0
	v_mov_b32_e32 v3, v8
	ds_store_b64 v2, v[6:7]
	ds_store_b32 v1, v8
.LBB16_53:
	s_or_b32 exec_lo, exec_lo, s4
.LBB16_54:
	s_delay_alu instid0(SALU_CYCLE_1) | instskip(NEXT) | instid1(SALU_CYCLE_1)
	s_or_b32 exec_lo, exec_lo, s5
	s_mov_b32 s5, exec_lo
	s_wait_dscnt 0x0
	s_barrier_signal -1
	s_barrier_wait -1
	v_cmpx_gt_u32_e32 64, v0
	s_cbranch_execz .LBB16_60
; %bb.55:
	ds_load_b64 v[6:7], v2 offset:512
	ds_load_b32 v8, v1 offset:256
	s_mov_b32 s11, exec_lo
	s_wait_dscnt 0x1
	v_cmp_lt_f64_e64 s10, v[4:5], v[6:7]
	v_cmpx_nlt_f64_e32 v[4:5], v[6:7]
	s_cbranch_execz .LBB16_57
; %bb.56:
	v_cmp_eq_f64_e32 vcc_lo, v[4:5], v[6:7]
	s_wait_dscnt 0x0
	v_cmp_gt_i32_e64 s4, v3, v8
	s_and_not1_b32 s10, s10, exec_lo
	s_and_b32 s4, vcc_lo, s4
	s_delay_alu instid0(SALU_CYCLE_1) | instskip(NEXT) | instid1(SALU_CYCLE_1)
	s_and_b32 s4, s4, exec_lo
	s_or_b32 s10, s10, s4
.LBB16_57:
	s_or_b32 exec_lo, exec_lo, s11
	s_and_saveexec_b32 s4, s10
	s_cbranch_execz .LBB16_59
; %bb.58:
	v_mov_b64_e32 v[4:5], v[6:7]
	s_wait_dscnt 0x0
	v_mov_b32_e32 v3, v8
	ds_store_b64 v2, v[6:7]
	ds_store_b32 v1, v8
.LBB16_59:
	s_or_b32 exec_lo, exec_lo, s4
.LBB16_60:
	s_delay_alu instid0(SALU_CYCLE_1) | instskip(NEXT) | instid1(SALU_CYCLE_1)
	s_or_b32 exec_lo, exec_lo, s5
	s_mov_b32 s10, exec_lo
	s_wait_dscnt 0x0
	s_barrier_signal -1
	s_barrier_wait -1
	v_cmpx_gt_u32_e32 32, v0
	s_cbranch_execz .LBB16_83
; %bb.61:
	ds_load_b64 v[6:7], v2 offset:256
	ds_load_b32 v8, v1 offset:128
	s_mov_b32 s11, exec_lo
	s_wait_dscnt 0x1
	v_cmp_lt_f64_e64 s5, v[4:5], v[6:7]
	v_cmpx_nlt_f64_e32 v[4:5], v[6:7]
	s_cbranch_execz .LBB16_63
; %bb.62:
	v_cmp_eq_f64_e32 vcc_lo, v[4:5], v[6:7]
	s_wait_dscnt 0x0
	v_cmp_gt_i32_e64 s4, v3, v8
	s_and_not1_b32 s5, s5, exec_lo
	s_and_b32 s4, vcc_lo, s4
	s_delay_alu instid0(SALU_CYCLE_1) | instskip(NEXT) | instid1(SALU_CYCLE_1)
	s_and_b32 s4, s4, exec_lo
	s_or_b32 s5, s5, s4
.LBB16_63:
	s_or_b32 exec_lo, exec_lo, s11
	s_and_saveexec_b32 s4, s5
	s_cbranch_execz .LBB16_65
; %bb.64:
	v_mov_b64_e32 v[4:5], v[6:7]
	s_wait_dscnt 0x0
	v_mov_b32_e32 v3, v8
	ds_store_b64 v2, v[6:7]
	ds_store_b32 v1, v8
.LBB16_65:
	s_or_b32 exec_lo, exec_lo, s4
	ds_load_b64 v[6:7], v2 offset:128
	s_wait_dscnt 0x1
	ds_load_b32 v8, v1 offset:64
	s_mov_b32 s11, exec_lo
	s_wait_dscnt 0x1
	v_cmp_lt_f64_e64 s5, v[4:5], v[6:7]
	v_cmpx_nlt_f64_e32 v[4:5], v[6:7]
	s_cbranch_execz .LBB16_67
; %bb.66:
	v_cmp_eq_f64_e32 vcc_lo, v[4:5], v[6:7]
	s_wait_dscnt 0x0
	v_cmp_gt_i32_e64 s4, v3, v8
	s_and_not1_b32 s5, s5, exec_lo
	s_and_b32 s4, vcc_lo, s4
	s_delay_alu instid0(SALU_CYCLE_1) | instskip(NEXT) | instid1(SALU_CYCLE_1)
	s_and_b32 s4, s4, exec_lo
	s_or_b32 s5, s5, s4
.LBB16_67:
	s_or_b32 exec_lo, exec_lo, s11
	s_and_saveexec_b32 s4, s5
	s_cbranch_execz .LBB16_69
; %bb.68:
	v_mov_b64_e32 v[4:5], v[6:7]
	s_wait_dscnt 0x0
	v_mov_b32_e32 v3, v8
	ds_store_b64 v2, v[6:7]
	ds_store_b32 v1, v8
.LBB16_69:
	s_or_b32 exec_lo, exec_lo, s4
	ds_load_b64 v[6:7], v2 offset:64
	s_wait_dscnt 0x1
	;; [unrolled: 29-line block ×5, first 2 shown]
	ds_load_b32 v8, v1 offset:4
	s_wait_dscnt 0x1
	v_cmp_eq_f64_e32 vcc_lo, v[4:5], v[6:7]
	v_cmp_lt_f64_e64 s4, v[4:5], v[6:7]
	s_wait_dscnt 0x0
	v_cmp_gt_i32_e64 s5, v3, v8
	s_and_b32 s5, vcc_lo, s5
	s_delay_alu instid0(SALU_CYCLE_1) | instskip(NEXT) | instid1(SALU_CYCLE_1)
	s_or_b32 s4, s4, s5
	s_and_b32 exec_lo, exec_lo, s4
	s_cbranch_execz .LBB16_83
; %bb.82:
	ds_store_b64 v2, v[6:7]
	ds_store_b32 v1, v8
.LBB16_83:
	s_or_b32 exec_lo, exec_lo, s10
.LBB16_84:
	v_mov_b32_e32 v1, 0
	s_wait_dscnt 0x0
	s_barrier_signal -1
	s_barrier_wait -1
	ds_load_b64 v[2:3], v1
	s_load_b128 s[44:47], s[0:1], 0x8
	s_wait_dscnt 0x0
	v_mul_f64_e32 v[2:3], s[38:39], v[2:3]
	s_wait_kmcnt 0x0
	v_mov_b64_e32 v[4:5], s[46:47]
	s_delay_alu instid0(VALU_DEP_2)
	v_cmp_gt_f64_e32 vcc_lo, s[38:39], v[2:3]
	v_readfirstlane_b32 s4, v3
	v_readfirstlane_b32 s5, v2
	v_mov_b64_e32 v[2:3], s[44:45]
	s_and_b32 s10, vcc_lo, exec_lo
	s_cselect_b32 s11, s39, s4
	s_cselect_b32 s10, s38, s5
	s_cmp_lg_u32 s34, 0xe9
	s_mov_b32 s4, -1
	s_cbranch_scc1 .LBB16_133
; %bb.85:
	s_lshl_b64 s[30:31], s[14:15], 3
	s_lshl_b64 s[38:39], s[42:43], 3
	s_add_nc_u64 s[4:5], s[28:29], s[30:31]
	s_lshl_b32 s12, s35, 1
	s_lshl_b64 s[14:15], s[40:41], 3
	s_add_nc_u64 s[40:41], s[4:5], s[38:39]
	s_mul_i32 s4, s12, s36
	s_lshl_b64 s[8:9], s[8:9], 3
	s_ashr_i32 s5, s4, 31
	s_add_nc_u64 s[14:15], s[18:19], s[14:15]
	s_add_nc_u64 s[18:19], s[6:7], s[8:9]
	s_lshl_b64 s[6:7], s[4:5], 3
	s_lshl_b64 s[4:5], s[4:5], 2
	s_add_nc_u64 s[6:7], s[22:23], s[6:7]
	s_add_nc_u64 s[8:9], s[24:25], s[4:5]
	s_and_saveexec_b32 s13, s2
	s_cbranch_execz .LBB16_93
; %bb.86:
	v_mov_b32_e32 v7, 0
	s_cmp_gt_i32 s35, 1
	s_clause 0x1
	global_load_b64 v[8:9], v7, s[40:41]
	global_load_b64 v[4:5], v7, s[18:19]
	s_cselect_b32 s42, -1, 0
	s_cmp_lt_i32 s35, 2
	s_wait_loadcnt 0x0
	v_add_f64_e64 v[2:3], v[8:9], -|v[4:5]|
	v_and_b32_e32 v1, 0x7fffffff, v5
	s_delay_alu instid0(VALU_DEP_2) | instskip(NEXT) | instid1(VALU_DEP_1)
	v_add_f64_e64 v[10:11], v[8:9], -v[2:3]
	v_cmp_ge_f64_e32 vcc_lo, s[10:11], v[10:11]
	v_cndmask_b32_e64 v6, 0, 1, vcc_lo
	s_cbranch_scc1 .LBB16_89
; %bb.87:
	v_cmp_gt_f64_e64 s22, v[10:11], -s[10:11]
	s_xor_b32 s43, s11, 0x80000000
	s_add_nc_u64 s[4:5], s[30:31], s[38:39]
	s_mov_b32 s44, s33
	s_add_nc_u64 s[4:5], s[28:29], s[4:5]
	s_delay_alu instid0(SALU_CYCLE_1) | instskip(SKIP_1) | instid1(SALU_CYCLE_1)
	s_add_nc_u64 s[4:5], s[4:5], 8
	s_and_b32 s22, vcc_lo, s22
	v_cndmask_b32_e64 v11, v11, s43, s22
	v_cndmask_b32_e64 v10, v10, s10, s22
	s_mov_b64 s[22:23], s[14:15]
.LBB16_88:                              ; =>This Inner Loop Header: Depth=1
	s_clause 0x1
	global_load_b64 v[12:13], v7, s[22:23]
	global_load_b64 v[14:15], v7, s[4:5]
	s_add_co_i32 s44, s44, -1
	s_wait_xcnt 0x0
	s_add_nc_u64 s[4:5], s[4:5], 8
	s_add_nc_u64 s[22:23], s[22:23], 8
	s_wait_loadcnt 0x1
	v_div_scale_f64 v[16:17], null, v[10:11], v[10:11], v[12:13]
	v_div_scale_f64 v[22:23], vcc_lo, v[12:13], v[10:11], v[12:13]
	s_wait_loadcnt 0x0
	v_add_f64_e64 v[14:15], v[14:15], -v[2:3]
	s_delay_alu instid0(VALU_DEP_3) | instskip(SKIP_1) | instid1(TRANS32_DEP_1)
	v_rcp_f64_e32 v[18:19], v[16:17]
	v_nop
	v_fma_f64 v[20:21], -v[16:17], v[18:19], 1.0
	s_delay_alu instid0(VALU_DEP_1) | instskip(NEXT) | instid1(VALU_DEP_1)
	v_fmac_f64_e32 v[18:19], v[18:19], v[20:21]
	v_fma_f64 v[20:21], -v[16:17], v[18:19], 1.0
	s_delay_alu instid0(VALU_DEP_1) | instskip(NEXT) | instid1(VALU_DEP_1)
	v_fmac_f64_e32 v[18:19], v[18:19], v[20:21]
	v_mul_f64_e32 v[20:21], v[22:23], v[18:19]
	s_delay_alu instid0(VALU_DEP_1) | instskip(NEXT) | instid1(VALU_DEP_1)
	v_fma_f64 v[16:17], -v[16:17], v[20:21], v[22:23]
	v_div_fmas_f64 v[16:17], v[16:17], v[18:19], v[20:21]
	s_delay_alu instid0(VALU_DEP_1) | instskip(NEXT) | instid1(VALU_DEP_1)
	v_div_fixup_f64 v[10:11], v[16:17], v[10:11], v[12:13]
	v_add_f64_e64 v[10:11], v[14:15], -v[10:11]
	s_delay_alu instid0(VALU_DEP_1)
	v_cmp_ge_f64_e32 vcc_lo, s[10:11], v[10:11]
	v_cmp_gt_f64_e64 s45, v[10:11], -s[10:11]
	v_add_co_ci_u32_e64 v6, null, 0, v6, vcc_lo
	s_and_b32 s45, vcc_lo, s45
	s_cmp_lg_u32 s44, 0
	v_cndmask_b32_e64 v11, v11, s43, s45
	v_cndmask_b32_e64 v10, v10, s10, s45
	s_cbranch_scc1 .LBB16_88
.LBB16_89:
	v_mov_b32_e32 v5, v1
	s_and_not1_b32 vcc_lo, exec_lo, s42
	s_delay_alu instid0(VALU_DEP_1) | instskip(NEXT) | instid1(VALU_DEP_1)
	v_add_f64_e32 v[4:5], v[8:9], v[4:5]
	v_add_f64_e64 v[8:9], v[8:9], -v[4:5]
	s_delay_alu instid0(VALU_DEP_1) | instskip(NEXT) | instid1(VALU_DEP_1)
	v_cmp_ge_f64_e64 s4, s[10:11], v[8:9]
	v_cndmask_b32_e64 v7, 0, 1, s4
	s_cbranch_vccnz .LBB16_92
; %bb.90:
	v_cmp_gt_f64_e64 s5, v[8:9], -s[10:11]
	s_xor_b32 s42, s11, 0x80000000
	s_add_nc_u64 s[22:23], s[30:31], s[38:39]
	v_mov_b32_e32 v1, 0
	s_add_nc_u64 s[22:23], s[28:29], s[22:23]
	s_mov_b32 s43, s33
	s_and_b32 s4, s4, s5
	s_delay_alu instid0(SALU_CYCLE_1)
	v_cndmask_b32_e64 v9, v9, s42, s4
	v_cndmask_b32_e64 v8, v8, s10, s4
	s_add_nc_u64 s[4:5], s[22:23], 8
	s_mov_b64 s[22:23], s[14:15]
.LBB16_91:                              ; =>This Inner Loop Header: Depth=1
	s_clause 0x1
	global_load_b64 v[10:11], v1, s[22:23]
	global_load_b64 v[12:13], v1, s[4:5]
	s_add_co_i32 s43, s43, -1
	s_wait_xcnt 0x0
	s_add_nc_u64 s[4:5], s[4:5], 8
	s_add_nc_u64 s[22:23], s[22:23], 8
	s_wait_loadcnt 0x1
	v_div_scale_f64 v[14:15], null, v[8:9], v[8:9], v[10:11]
	v_div_scale_f64 v[20:21], vcc_lo, v[10:11], v[8:9], v[10:11]
	s_wait_loadcnt 0x0
	v_add_f64_e64 v[12:13], v[12:13], -v[4:5]
	s_delay_alu instid0(VALU_DEP_3) | instskip(SKIP_1) | instid1(TRANS32_DEP_1)
	v_rcp_f64_e32 v[16:17], v[14:15]
	v_nop
	v_fma_f64 v[18:19], -v[14:15], v[16:17], 1.0
	s_delay_alu instid0(VALU_DEP_1) | instskip(NEXT) | instid1(VALU_DEP_1)
	v_fmac_f64_e32 v[16:17], v[16:17], v[18:19]
	v_fma_f64 v[18:19], -v[14:15], v[16:17], 1.0
	s_delay_alu instid0(VALU_DEP_1) | instskip(NEXT) | instid1(VALU_DEP_1)
	v_fmac_f64_e32 v[16:17], v[16:17], v[18:19]
	v_mul_f64_e32 v[18:19], v[20:21], v[16:17]
	s_delay_alu instid0(VALU_DEP_1) | instskip(NEXT) | instid1(VALU_DEP_1)
	v_fma_f64 v[14:15], -v[14:15], v[18:19], v[20:21]
	v_div_fmas_f64 v[14:15], v[14:15], v[16:17], v[18:19]
	s_delay_alu instid0(VALU_DEP_1) | instskip(NEXT) | instid1(VALU_DEP_1)
	v_div_fixup_f64 v[8:9], v[14:15], v[8:9], v[10:11]
	v_add_f64_e64 v[8:9], v[12:13], -v[8:9]
	s_delay_alu instid0(VALU_DEP_1)
	v_cmp_ge_f64_e32 vcc_lo, s[10:11], v[8:9]
	v_cmp_gt_f64_e64 s44, v[8:9], -s[10:11]
	v_add_co_ci_u32_e64 v7, null, 0, v7, vcc_lo
	s_and_b32 s44, vcc_lo, s44
	s_cmp_lg_u32 s43, 0
	v_cndmask_b32_e64 v9, v9, s42, s44
	v_cndmask_b32_e64 v8, v8, s10, s44
	s_cbranch_scc1 .LBB16_91
.LBB16_92:
	v_mov_b32_e32 v1, 0
	s_clause 0x1
	global_store_b128 v1, v[2:5], s[6:7]
	global_store_b64 v1, v[6:7], s[8:9]
.LBB16_93:
	s_wait_xcnt 0x0
	s_or_b32 exec_lo, exec_lo, s13
	v_add_nc_u32_e32 v4, 1, v0
	s_mov_b32 s13, exec_lo
	s_delay_alu instid0(VALU_DEP_1)
	v_cmpx_gt_i32_e64 s33, v4
	s_cbranch_execz .LBB16_100
; %bb.94:
	s_add_nc_u64 s[4:5], s[30:31], s[38:39]
	v_mov_b32_e32 v5, 0
	s_add_nc_u64 s[4:5], s[28:29], s[4:5]
	s_mov_b32 s44, 0
	s_add_nc_u64 s[4:5], s[4:5], 8
	s_xor_b32 s45, s11, 0x80000000
.LBB16_95:                              ; =>This Loop Header: Depth=1
                                        ;     Child Loop BB16_96 Depth 2
                                        ;     Child Loop BB16_98 Depth 2
	v_lshl_add_u64 v[0:1], v[4:5], 3, s[18:19]
	s_mov_b32 s46, 1
	s_mov_b64 s[42:43], s[4:5]
	global_load_b128 v[10:13], v[0:1], off offset:-8
	s_clause 0x1
	global_load_b64 v[2:3], v4, s[40:41] scale_offset
	global_load_b64 v[8:9], v5, s[40:41]
	s_wait_loadcnt 0x2
	v_add_f64_e64 v[10:11], |v[12:13]|, |v[10:11]|
	s_wait_loadcnt 0x1
	s_wait_xcnt 0x2
	s_delay_alu instid0(VALU_DEP_1) | instskip(SKIP_1) | instid1(VALU_DEP_1)
	v_add_f64_e64 v[0:1], v[2:3], -v[10:11]
	s_wait_loadcnt 0x0
	v_add_f64_e64 v[12:13], v[8:9], -v[0:1]
	s_delay_alu instid0(VALU_DEP_1)
	v_cmp_gt_f64_e64 s22, v[12:13], -s[10:11]
	v_cmp_ge_f64_e32 vcc_lo, s[10:11], v[12:13]
	s_and_b32 s22, vcc_lo, s22
	v_cndmask_b32_e64 v6, 0, 1, vcc_lo
	v_cndmask_b32_e64 v13, v13, s45, s22
	v_cndmask_b32_e64 v12, v12, s10, s22
	s_mov_b64 s[22:23], s[14:15]
.LBB16_96:                              ;   Parent Loop BB16_95 Depth=1
                                        ; =>  This Inner Loop Header: Depth=2
	s_clause 0x1
	global_load_b64 v[14:15], v5, s[22:23]
	global_load_b64 v[16:17], v5, s[42:43]
	s_add_co_i32 s46, s46, 1
	s_wait_xcnt 0x0
	s_add_nc_u64 s[42:43], s[42:43], 8
	s_add_nc_u64 s[22:23], s[22:23], 8
	s_wait_loadcnt 0x1
	v_div_scale_f64 v[18:19], null, v[12:13], v[12:13], v[14:15]
	v_div_scale_f64 v[24:25], vcc_lo, v[14:15], v[12:13], v[14:15]
	s_wait_loadcnt 0x0
	v_add_f64_e64 v[16:17], v[16:17], -v[0:1]
	s_delay_alu instid0(VALU_DEP_3) | instskip(SKIP_1) | instid1(TRANS32_DEP_1)
	v_rcp_f64_e32 v[20:21], v[18:19]
	v_nop
	v_fma_f64 v[22:23], -v[18:19], v[20:21], 1.0
	s_delay_alu instid0(VALU_DEP_1) | instskip(NEXT) | instid1(VALU_DEP_1)
	v_fmac_f64_e32 v[20:21], v[20:21], v[22:23]
	v_fma_f64 v[22:23], -v[18:19], v[20:21], 1.0
	s_delay_alu instid0(VALU_DEP_1) | instskip(NEXT) | instid1(VALU_DEP_1)
	v_fmac_f64_e32 v[20:21], v[20:21], v[22:23]
	v_mul_f64_e32 v[22:23], v[24:25], v[20:21]
	s_delay_alu instid0(VALU_DEP_1) | instskip(NEXT) | instid1(VALU_DEP_1)
	v_fma_f64 v[18:19], -v[18:19], v[22:23], v[24:25]
	v_div_fmas_f64 v[18:19], v[18:19], v[20:21], v[22:23]
	s_delay_alu instid0(VALU_DEP_1) | instskip(NEXT) | instid1(VALU_DEP_1)
	v_div_fixup_f64 v[12:13], v[18:19], v[12:13], v[14:15]
	v_add_f64_e64 v[12:13], v[16:17], -v[12:13]
	s_delay_alu instid0(VALU_DEP_1)
	v_cmp_ge_f64_e32 vcc_lo, s[10:11], v[12:13]
	v_cmp_gt_f64_e64 s47, v[12:13], -s[10:11]
	v_add_co_ci_u32_e64 v6, null, 0, v6, vcc_lo
	s_and_b32 s47, vcc_lo, s47
	s_cmp_lg_u32 s35, s46
	v_cndmask_b32_e64 v13, v13, s45, s47
	v_cndmask_b32_e64 v12, v12, s10, s47
	s_cbranch_scc1 .LBB16_96
; %bb.97:                               ;   in Loop: Header=BB16_95 Depth=1
	v_add_f64_e32 v[2:3], v[2:3], v[10:11]
	s_mov_b64 s[42:43], s[4:5]
	s_mov_b32 s46, s33
	s_delay_alu instid0(VALU_DEP_1) | instskip(NEXT) | instid1(VALU_DEP_1)
	v_add_f64_e64 v[8:9], v[8:9], -v[2:3]
	v_cmp_gt_f64_e64 s22, v[8:9], -s[10:11]
	v_cmp_ge_f64_e32 vcc_lo, s[10:11], v[8:9]
	s_and_b32 s22, vcc_lo, s22
	v_cndmask_b32_e64 v7, 0, 1, vcc_lo
	v_cndmask_b32_e64 v9, v9, s45, s22
	v_cndmask_b32_e64 v8, v8, s10, s22
	s_mov_b64 s[22:23], s[14:15]
.LBB16_98:                              ;   Parent Loop BB16_95 Depth=1
                                        ; =>  This Inner Loop Header: Depth=2
	s_clause 0x1
	global_load_b64 v[10:11], v5, s[22:23]
	global_load_b64 v[12:13], v5, s[42:43]
	s_add_co_i32 s46, s46, -1
	s_wait_xcnt 0x0
	s_add_nc_u64 s[42:43], s[42:43], 8
	s_add_nc_u64 s[22:23], s[22:23], 8
	s_wait_loadcnt 0x1
	v_div_scale_f64 v[14:15], null, v[8:9], v[8:9], v[10:11]
	v_div_scale_f64 v[20:21], vcc_lo, v[10:11], v[8:9], v[10:11]
	s_wait_loadcnt 0x0
	v_add_f64_e64 v[12:13], v[12:13], -v[2:3]
	s_delay_alu instid0(VALU_DEP_3) | instskip(SKIP_1) | instid1(TRANS32_DEP_1)
	v_rcp_f64_e32 v[16:17], v[14:15]
	v_nop
	v_fma_f64 v[18:19], -v[14:15], v[16:17], 1.0
	s_delay_alu instid0(VALU_DEP_1) | instskip(NEXT) | instid1(VALU_DEP_1)
	v_fmac_f64_e32 v[16:17], v[16:17], v[18:19]
	v_fma_f64 v[18:19], -v[14:15], v[16:17], 1.0
	s_delay_alu instid0(VALU_DEP_1) | instskip(NEXT) | instid1(VALU_DEP_1)
	v_fmac_f64_e32 v[16:17], v[16:17], v[18:19]
	v_mul_f64_e32 v[18:19], v[20:21], v[16:17]
	s_delay_alu instid0(VALU_DEP_1) | instskip(NEXT) | instid1(VALU_DEP_1)
	v_fma_f64 v[14:15], -v[14:15], v[18:19], v[20:21]
	v_div_fmas_f64 v[14:15], v[14:15], v[16:17], v[18:19]
	s_delay_alu instid0(VALU_DEP_1) | instskip(NEXT) | instid1(VALU_DEP_1)
	v_div_fixup_f64 v[8:9], v[14:15], v[8:9], v[10:11]
	v_add_f64_e64 v[8:9], v[12:13], -v[8:9]
	s_delay_alu instid0(VALU_DEP_1)
	v_cmp_ge_f64_e32 vcc_lo, s[10:11], v[8:9]
	v_cmp_gt_f64_e64 s47, v[8:9], -s[10:11]
	v_add_co_ci_u32_e64 v7, null, 0, v7, vcc_lo
	s_and_b32 s47, vcc_lo, s47
	s_cmp_lg_u32 s46, 0
	v_cndmask_b32_e64 v9, v9, s45, s47
	v_cndmask_b32_e64 v8, v8, s10, s47
	s_cbranch_scc1 .LBB16_98
; %bb.99:                               ;   in Loop: Header=BB16_95 Depth=1
	v_dual_mov_b32 v9, v5 :: v_dual_lshlrev_b32 v8, 1, v4
	v_add_nc_u32_e32 v4, 0x100, v4
	s_delay_alu instid0(VALU_DEP_2) | instskip(NEXT) | instid1(VALU_DEP_2)
	v_lshl_add_u64 v[10:11], v[8:9], 3, s[6:7]
	v_cmp_le_i32_e32 vcc_lo, s33, v4
	v_lshl_add_u64 v[8:9], v[8:9], 2, s[8:9]
	global_store_b128 v[10:11], v[0:3], off
	global_store_b64 v[8:9], v[6:7], off
	s_or_b32 s44, vcc_lo, s44
	s_wait_xcnt 0x0
	s_and_not1_b32 exec_lo, exec_lo, s44
	s_cbranch_execnz .LBB16_95
.LBB16_100:
	s_or_b32 exec_lo, exec_lo, s13
	s_and_saveexec_b32 s22, s3
	s_cbranch_execz .LBB16_108
; %bb.101:
	v_dual_mov_b32 v0, s35 :: v_dual_mov_b32 v12, 0
	s_cmp_gt_i32 s35, 1
	s_clause 0x1
	global_load_b64 v[2:3], v0, s[40:41] offset:-8 scale_offset
	global_load_b64 v[6:7], v0, s[18:19] offset:-16 scale_offset
	global_load_b64 v[8:9], v12, s[40:41]
	s_cselect_b32 s13, -1, 0
	s_cmp_lt_i32 s35, 2
	s_wait_loadcnt 0x1
	s_wait_xcnt 0x1
	v_add_f64_e64 v[0:1], v[2:3], -|v[6:7]|
	v_and_b32_e32 v5, 0x7fffffff, v7
	s_wait_loadcnt 0x0
	s_delay_alu instid0(VALU_DEP_2) | instskip(NEXT) | instid1(VALU_DEP_1)
	v_add_f64_e64 v[10:11], v[8:9], -v[0:1]
	v_cmp_ge_f64_e32 vcc_lo, s[10:11], v[10:11]
	v_cndmask_b32_e64 v4, 0, 1, vcc_lo
	s_cbranch_scc1 .LBB16_104
; %bb.102:
	v_cmp_gt_f64_e64 s18, v[10:11], -s[10:11]
	s_xor_b32 s3, s11, 0x80000000
	s_add_nc_u64 s[4:5], s[30:31], s[38:39]
	s_mov_b32 s23, s33
	s_add_nc_u64 s[4:5], s[28:29], s[4:5]
	s_delay_alu instid0(SALU_CYCLE_1) | instskip(SKIP_1) | instid1(SALU_CYCLE_1)
	s_add_nc_u64 s[4:5], s[4:5], 8
	s_and_b32 s18, vcc_lo, s18
	v_cndmask_b32_e64 v11, v11, s3, s18
	v_cndmask_b32_e64 v10, v10, s10, s18
	s_mov_b64 s[18:19], s[14:15]
.LBB16_103:                             ; =>This Inner Loop Header: Depth=1
	s_clause 0x1
	global_load_b64 v[14:15], v12, s[18:19]
	global_load_b64 v[16:17], v12, s[4:5]
	s_add_co_i32 s23, s23, -1
	s_wait_xcnt 0x0
	s_add_nc_u64 s[4:5], s[4:5], 8
	s_add_nc_u64 s[18:19], s[18:19], 8
	s_wait_loadcnt 0x1
	v_div_scale_f64 v[18:19], null, v[10:11], v[10:11], v[14:15]
	v_div_scale_f64 v[24:25], vcc_lo, v[14:15], v[10:11], v[14:15]
	s_wait_loadcnt 0x0
	v_add_f64_e64 v[16:17], v[16:17], -v[0:1]
	s_delay_alu instid0(VALU_DEP_3) | instskip(SKIP_1) | instid1(TRANS32_DEP_1)
	v_rcp_f64_e32 v[20:21], v[18:19]
	v_nop
	v_fma_f64 v[22:23], -v[18:19], v[20:21], 1.0
	s_delay_alu instid0(VALU_DEP_1) | instskip(NEXT) | instid1(VALU_DEP_1)
	v_fmac_f64_e32 v[20:21], v[20:21], v[22:23]
	v_fma_f64 v[22:23], -v[18:19], v[20:21], 1.0
	s_delay_alu instid0(VALU_DEP_1) | instskip(NEXT) | instid1(VALU_DEP_1)
	v_fmac_f64_e32 v[20:21], v[20:21], v[22:23]
	v_mul_f64_e32 v[22:23], v[24:25], v[20:21]
	s_delay_alu instid0(VALU_DEP_1) | instskip(NEXT) | instid1(VALU_DEP_1)
	v_fma_f64 v[18:19], -v[18:19], v[22:23], v[24:25]
	v_div_fmas_f64 v[18:19], v[18:19], v[20:21], v[22:23]
	s_delay_alu instid0(VALU_DEP_1) | instskip(NEXT) | instid1(VALU_DEP_1)
	v_div_fixup_f64 v[10:11], v[18:19], v[10:11], v[14:15]
	v_add_f64_e64 v[10:11], v[16:17], -v[10:11]
	s_delay_alu instid0(VALU_DEP_1)
	v_cmp_ge_f64_e32 vcc_lo, s[10:11], v[10:11]
	v_cmp_gt_f64_e64 s40, v[10:11], -s[10:11]
	v_add_co_ci_u32_e64 v4, null, 0, v4, vcc_lo
	s_and_b32 s40, vcc_lo, s40
	s_cmp_lg_u32 s23, 0
	v_cndmask_b32_e64 v11, v11, s3, s40
	v_cndmask_b32_e64 v10, v10, s10, s40
	s_cbranch_scc1 .LBB16_103
.LBB16_104:
	v_mov_b32_e32 v7, v5
	s_and_not1_b32 vcc_lo, exec_lo, s13
	s_delay_alu instid0(VALU_DEP_1) | instskip(NEXT) | instid1(VALU_DEP_1)
	v_add_f64_e32 v[2:3], v[2:3], v[6:7]
	v_add_f64_e64 v[6:7], v[8:9], -v[2:3]
	s_delay_alu instid0(VALU_DEP_1) | instskip(NEXT) | instid1(VALU_DEP_1)
	v_cmp_ge_f64_e64 s3, s[10:11], v[6:7]
	v_cndmask_b32_e64 v5, 0, 1, s3
	s_cbranch_vccnz .LBB16_107
; %bb.105:
	v_cmp_gt_f64_e64 s18, v[6:7], -s[10:11]
	s_xor_b32 s13, s11, 0x80000000
	s_add_nc_u64 s[4:5], s[30:31], s[38:39]
	v_mov_b32_e32 v8, 0
	s_add_nc_u64 s[4:5], s[28:29], s[4:5]
	s_delay_alu instid0(SALU_CYCLE_1) | instskip(SKIP_1) | instid1(SALU_CYCLE_1)
	s_add_nc_u64 s[4:5], s[4:5], 8
	s_and_b32 s3, s3, s18
	v_cndmask_b32_e64 v7, v7, s13, s3
	v_cndmask_b32_e64 v6, v6, s10, s3
.LBB16_106:                             ; =>This Inner Loop Header: Depth=1
	s_clause 0x1
	global_load_b64 v[10:11], v8, s[14:15]
	global_load_b64 v[12:13], v8, s[4:5]
	s_add_co_i32 s33, s33, -1
	s_wait_xcnt 0x0
	s_add_nc_u64 s[4:5], s[4:5], 8
	s_add_nc_u64 s[14:15], s[14:15], 8
	s_wait_loadcnt 0x1
	v_div_scale_f64 v[14:15], null, v[6:7], v[6:7], v[10:11]
	v_div_scale_f64 v[20:21], vcc_lo, v[10:11], v[6:7], v[10:11]
	s_wait_loadcnt 0x0
	v_add_f64_e64 v[12:13], v[12:13], -v[2:3]
	s_delay_alu instid0(VALU_DEP_3) | instskip(SKIP_1) | instid1(TRANS32_DEP_1)
	v_rcp_f64_e32 v[16:17], v[14:15]
	v_nop
	v_fma_f64 v[18:19], -v[14:15], v[16:17], 1.0
	s_delay_alu instid0(VALU_DEP_1) | instskip(NEXT) | instid1(VALU_DEP_1)
	v_fmac_f64_e32 v[16:17], v[16:17], v[18:19]
	v_fma_f64 v[18:19], -v[14:15], v[16:17], 1.0
	s_delay_alu instid0(VALU_DEP_1) | instskip(NEXT) | instid1(VALU_DEP_1)
	v_fmac_f64_e32 v[16:17], v[16:17], v[18:19]
	v_mul_f64_e32 v[18:19], v[20:21], v[16:17]
	s_delay_alu instid0(VALU_DEP_1) | instskip(NEXT) | instid1(VALU_DEP_1)
	v_fma_f64 v[14:15], -v[14:15], v[18:19], v[20:21]
	v_div_fmas_f64 v[14:15], v[14:15], v[16:17], v[18:19]
	s_delay_alu instid0(VALU_DEP_1) | instskip(NEXT) | instid1(VALU_DEP_1)
	v_div_fixup_f64 v[6:7], v[14:15], v[6:7], v[10:11]
	v_add_f64_e64 v[6:7], v[12:13], -v[6:7]
	s_delay_alu instid0(VALU_DEP_1)
	v_cmp_ge_f64_e32 vcc_lo, s[10:11], v[6:7]
	v_cmp_gt_f64_e64 s3, v[6:7], -s[10:11]
	v_add_co_ci_u32_e64 v5, null, 0, v5, vcc_lo
	s_and_b32 s3, vcc_lo, s3
	s_cmp_lg_u32 s33, 0
	v_cndmask_b32_e64 v7, v7, s13, s3
	v_cndmask_b32_e64 v6, v6, s10, s3
	s_cbranch_scc1 .LBB16_106
.LBB16_107:
	s_ashr_i32 s13, s12, 31
	v_mov_b32_e32 v6, 0
	s_lshl_b64 s[4:5], s[12:13], 3
	s_lshl_b64 s[14:15], s[12:13], 2
	s_add_nc_u64 s[4:5], s[6:7], s[4:5]
	s_add_nc_u64 s[14:15], s[8:9], s[14:15]
	s_clause 0x1
	global_store_b128 v6, v[0:3], s[4:5] offset:-16
	global_store_b64 v6, v[4:5], s[14:15] offset:-8
.LBB16_108:
	s_wait_xcnt 0x0
	s_or_b32 exec_lo, exec_lo, s22
	s_mov_b32 s4, 0
	s_wait_storecnt 0x0
	s_barrier_signal -1
	s_barrier_wait -1
                                        ; implicit-def: $vgpr4_vgpr5
                                        ; implicit-def: $vgpr2_vgpr3
	s_and_saveexec_b32 s3, s2
	s_cbranch_execz .LBB16_132
; %bb.109:
	s_cmp_gt_i32 s35, 0
	s_mov_b32 s4, 1
	s_cselect_b32 s13, -1, 0
	s_cmp_lt_i32 s35, 1
	s_cbranch_scc1 .LBB16_117
; %bb.110:
	v_mov_b32_e32 v4, 0
	s_cmp_lg_u64 s[24:25], 0
	s_add_nc_u64 s[14:15], s[6:7], 8
	s_cselect_b32 s28, -1, 0
	s_branch .LBB16_112
.LBB16_111:                             ;   in Loop: Header=BB16_112 Depth=1
	s_add_co_i32 s4, s4, 1
	s_add_nc_u64 s[14:15], s[14:15], 8
	s_cmp_lg_u32 s4, s12
	s_cbranch_scc0 .LBB16_117
.LBB16_112:                             ; =>This Loop Header: Depth=1
                                        ;     Child Loop BB16_113 Depth 2
	s_wait_xcnt 0x1
	v_mov_b32_e32 v0, s4
	s_ashr_i32 s5, s4, 31
	s_add_co_i32 s19, s4, -1
	s_wait_xcnt 0x0
	s_lshl_b64 s[22:23], s[4:5], 3
	s_mov_b64 s[24:25], s[14:15]
	global_load_b64 v[0:1], v0, s[6:7] offset:-8 scale_offset
	s_add_nc_u64 s[22:23], s[6:7], s[22:23]
	s_mov_b32 s29, s4
	s_mov_b32 s18, s19
	s_wait_loadcnt 0x0
	v_mov_b64_e32 v[2:3], v[0:1]
.LBB16_113:                             ;   Parent Loop BB16_112 Depth=1
                                        ; =>  This Inner Loop Header: Depth=2
	global_load_b64 v[6:7], v4, s[24:25]
	s_wait_xcnt 0x0
	s_add_nc_u64 s[24:25], s[24:25], 8
	s_wait_loadcnt 0x0
	v_cmp_lt_f64_e32 vcc_lo, v[6:7], v[2:3]
	v_dual_cndmask_b32 v3, v3, v7 :: v_dual_cndmask_b32 v2, v2, v6
	s_and_b32 s30, vcc_lo, exec_lo
	s_cselect_b32 s18, s29, s18
	s_add_co_i32 s29, s29, 1
	s_delay_alu instid0(SALU_CYCLE_1)
	s_cmp_eq_u32 s12, s29
	s_cbranch_scc0 .LBB16_113
; %bb.114:                              ;   in Loop: Header=BB16_112 Depth=1
	s_cmp_lg_u32 s18, s19
	s_cbranch_scc0 .LBB16_111
; %bb.115:                              ;   in Loop: Header=BB16_112 Depth=1
	v_mov_b32_e32 v5, s18
	s_and_not1_b32 vcc_lo, exec_lo, s28
	s_clause 0x1
	global_store_b64 v5, v[0:1], s[6:7] scale_offset
	global_store_b64 v4, v[2:3], s[22:23] offset:-8
	s_cbranch_vccnz .LBB16_111
; %bb.116:                              ;   in Loop: Header=BB16_112 Depth=1
	s_ashr_i32 s19, s18, 31
	s_wait_xcnt 0x0
	s_lshl_b64 s[22:23], s[4:5], 2
	s_lshl_b64 s[18:19], s[18:19], 2
	s_add_nc_u64 s[22:23], s[8:9], s[22:23]
	s_add_nc_u64 s[18:19], s[8:9], s[18:19]
	s_clause 0x1
	global_load_b32 v0, v4, s[22:23] offset:-4
	global_load_b32 v1, v4, s[18:19]
	s_wait_loadcnt 0x1
	global_store_b32 v4, v0, s[18:19]
	s_wait_loadcnt 0x0
	global_store_b32 v4, v1, s[22:23] offset:-4
	s_branch .LBB16_111
.LBB16_117:
	s_wait_xcnt 0x0
	v_dual_mov_b32 v1, 0 :: v_dual_mov_b32 v10, s12
	v_cvt_f64_i32_e32 v[8:9], s35
	s_load_b64 s[0:1], s[0:1], 0x18
	v_cndmask_b32_e64 v0, 0, 1, s13
	s_clause 0x1
	global_load_b64 v[2:3], v1, s[6:7]
	global_load_b64 v[4:5], v10, s[6:7] offset:-8 scale_offset
	s_wait_loadcnt 0x0
	v_cmp_lt_f64_e64 vcc_lo, |v[2:3]|, |v[4:5]|
	v_dual_cndmask_b32 v7, v3, v5 :: v_dual_cndmask_b32 v6, v2, v4
	s_and_not1_b32 vcc_lo, exec_lo, s13
	s_delay_alu instid0(VALU_DEP_1) | instskip(NEXT) | instid1(VALU_DEP_1)
	v_mul_f64_e64 v[6:7], s[26:27], |v[6:7]|
	v_fma_f64 v[2:3], -v[6:7], v[8:9], v[2:3]
	v_fmac_f64_e32 v[4:5], v[6:7], v[8:9]
	s_delay_alu instid0(VALU_DEP_2) | instskip(NEXT) | instid1(VALU_DEP_2)
	v_add_f64_e64 v[2:3], v[2:3], -s[10:11]
	v_add_f64_e32 v[4:5], s[10:11], v[4:5]
	s_clause 0x1
	global_store_b64 v1, v[2:3], s[6:7]
	global_store_b64 v10, v[4:5], s[6:7] offset:-8 scale_offset
	s_cbranch_vccnz .LBB16_123
; %bb.118:
	s_max_i32 s13, s12, 2
	s_add_nc_u64 s[4:5], s[8:9], 4
	s_add_co_i32 s13, s13, -1
	s_mov_b32 s15, 0
	s_branch .LBB16_120
.LBB16_119:                             ;   in Loop: Header=BB16_120 Depth=1
	s_add_co_i32 s15, s15, 1
	s_wait_xcnt 0x0
	s_add_nc_u64 s[4:5], s[4:5], 4
	s_cmp_eq_u32 s13, s15
	s_mov_b32 s14, s13
	s_cselect_b32 s18, -1, 0
	s_delay_alu instid0(SALU_CYCLE_1)
	s_and_not1_b32 vcc_lo, exec_lo, s18
	s_cbranch_vccz .LBB16_122
.LBB16_120:                             ; =>This Inner Loop Header: Depth=1
	global_load_b32 v2, v1, s[4:5]
	s_wait_loadcnt 0x0
	s_wait_kmcnt 0x0
	v_cmp_le_i32_e32 vcc_lo, s0, v2
	s_cbranch_vccz .LBB16_119
; %bb.121:
	s_mov_b32 s14, s15
                                        ; implicit-def: $sgpr4_sgpr5
.LBB16_122:
	s_mov_b32 s15, 0
	s_branch .LBB16_124
.LBB16_123:
	s_mov_b64 s[14:15], 0
.LBB16_124:
	s_wait_xcnt 0x0
	v_mov_b32_e32 v1, 0
	s_lshl_b64 s[4:5], s[14:15], 3
	v_cmp_ne_u32_e32 vcc_lo, 1, v0
	s_add_nc_u64 s[4:5], s[6:7], s[4:5]
	s_mov_b32 s13, 1
	global_load_b64 v[2:3], v1, s[4:5]
	s_cbranch_vccnz .LBB16_130
; %bb.125:
	s_max_i32 s12, s12, 2
	s_wait_xcnt 0x0
	s_add_nc_u64 s[4:5], s[8:9], 4
	s_add_co_i32 s14, s12, -1
	s_branch .LBB16_127
.LBB16_126:
	s_mov_b32 s0, s13
                                        ; implicit-def: $sgpr4_sgpr5
	s_branch .LBB16_129
.LBB16_127:                             ; =>This Inner Loop Header: Depth=1
	global_load_b32 v0, v1, s[4:5]
	s_wait_loadcnt 0x0
	s_wait_kmcnt 0x0
	v_cmp_gt_i32_e32 vcc_lo, s1, v0
	s_cbranch_vccz .LBB16_126
; %bb.128:                              ;   in Loop: Header=BB16_127 Depth=1
	s_add_co_i32 s13, s13, 1
	s_wait_xcnt 0x0
	s_add_nc_u64 s[4:5], s[4:5], 4
	s_cmp_eq_u32 s12, s13
	s_mov_b32 s0, s14
	s_cselect_b32 s8, -1, 0
	s_delay_alu instid0(SALU_CYCLE_1)
	s_and_not1_b32 vcc_lo, exec_lo, s8
	s_cbranch_vccnz .LBB16_127
.LBB16_129:
	s_ashr_i32 s1, s0, 31
	s_branch .LBB16_131
.LBB16_130:
	s_wait_kmcnt 0x0
	s_mov_b64 s[0:1], 0
.LBB16_131:
	v_mov_b32_e32 v0, 0
	s_lshl_b64 s[0:1], s[0:1], 3
	s_wait_xcnt 0x0
	s_mov_b32 s4, exec_lo
	s_add_nc_u64 s[0:1], s[6:7], s[0:1]
	global_load_b64 v[4:5], v0, s[0:1]
.LBB16_132:
	s_wait_xcnt 0x0
	s_or_b32 exec_lo, exec_lo, s3
.LBB16_133:
	s_and_saveexec_b32 s0, s4
	s_cbranch_execz .LBB16_136
; %bb.134:
	s_and_b32 exec_lo, exec_lo, s2
	s_cbranch_execz .LBB16_136
; %bb.135:
	s_lshl_b32 s0, s36, 1
	s_lshl_b64 s[2:3], s[36:37], 3
	s_ashr_i32 s1, s0, 31
	v_mov_b64_e32 v[0:1], s[10:11]
	s_lshl_b64 s[0:1], s[0:1], 3
	s_cmp_eq_u32 s34, 0xe7
	v_mov_b32_e32 v6, 0
	s_cselect_b32 s4, -1, 0
	s_add_nc_u64 s[2:3], s[16:17], s[2:3]
	s_wait_loadcnt 0x0
	v_cndmask_b32_e64 v5, v5, 0, s4
	v_cndmask_b32_e64 v4, v4, 0, s4
	v_cndmask_b32_e64 v3, v3, 0, s4
	v_cndmask_b32_e64 v2, v2, 0, s4
	s_add_nc_u64 s[0:1], s[20:21], s[0:1]
	s_clause 0x1
	global_store_b64 v6, v[0:1], s[2:3]
	global_store_b128 v6, v[2:5], s[0:1]
.LBB16_136:
	s_endpgm
	.section	.rodata,"a",@progbits
	.p2align	6, 0x0
	.amdhsa_kernel _ZN9rocsolver6v33100L22stebz_splitting_kernelIdPdEEv15rocblas_erange_iT_S4_iiT0_iiS5_iiPiPS4_lS6_lS6_S7_S7_S7_S7_S6_S4_S4_
		.amdhsa_group_segment_fixed_size 3072
		.amdhsa_private_segment_fixed_size 0
		.amdhsa_kernarg_size 168
		.amdhsa_user_sgpr_count 2
		.amdhsa_user_sgpr_dispatch_ptr 0
		.amdhsa_user_sgpr_queue_ptr 0
		.amdhsa_user_sgpr_kernarg_segment_ptr 1
		.amdhsa_user_sgpr_dispatch_id 0
		.amdhsa_user_sgpr_kernarg_preload_length 0
		.amdhsa_user_sgpr_kernarg_preload_offset 0
		.amdhsa_user_sgpr_private_segment_size 0
		.amdhsa_wavefront_size32 1
		.amdhsa_uses_dynamic_stack 0
		.amdhsa_enable_private_segment 0
		.amdhsa_system_sgpr_workgroup_id_x 1
		.amdhsa_system_sgpr_workgroup_id_y 1
		.amdhsa_system_sgpr_workgroup_id_z 0
		.amdhsa_system_sgpr_workgroup_info 0
		.amdhsa_system_vgpr_workitem_id 0
		.amdhsa_next_free_vgpr 34
		.amdhsa_next_free_sgpr 58
		.amdhsa_named_barrier_count 0
		.amdhsa_reserve_vcc 1
		.amdhsa_float_round_mode_32 0
		.amdhsa_float_round_mode_16_64 0
		.amdhsa_float_denorm_mode_32 3
		.amdhsa_float_denorm_mode_16_64 3
		.amdhsa_fp16_overflow 0
		.amdhsa_memory_ordered 1
		.amdhsa_forward_progress 1
		.amdhsa_inst_pref_size 55
		.amdhsa_round_robin_scheduling 0
		.amdhsa_exception_fp_ieee_invalid_op 0
		.amdhsa_exception_fp_denorm_src 0
		.amdhsa_exception_fp_ieee_div_zero 0
		.amdhsa_exception_fp_ieee_overflow 0
		.amdhsa_exception_fp_ieee_underflow 0
		.amdhsa_exception_fp_ieee_inexact 0
		.amdhsa_exception_int_div_zero 0
	.end_amdhsa_kernel
	.section	.text._ZN9rocsolver6v33100L22stebz_splitting_kernelIdPdEEv15rocblas_erange_iT_S4_iiT0_iiS5_iiPiPS4_lS6_lS6_S7_S7_S7_S7_S6_S4_S4_,"axG",@progbits,_ZN9rocsolver6v33100L22stebz_splitting_kernelIdPdEEv15rocblas_erange_iT_S4_iiT0_iiS5_iiPiPS4_lS6_lS6_S7_S7_S7_S7_S6_S4_S4_,comdat
.Lfunc_end16:
	.size	_ZN9rocsolver6v33100L22stebz_splitting_kernelIdPdEEv15rocblas_erange_iT_S4_iiT0_iiS5_iiPiPS4_lS6_lS6_S7_S7_S7_S7_S6_S4_S4_, .Lfunc_end16-_ZN9rocsolver6v33100L22stebz_splitting_kernelIdPdEEv15rocblas_erange_iT_S4_iiT0_iiS5_iiPiPS4_lS6_lS6_S7_S7_S7_S7_S6_S4_S4_
                                        ; -- End function
	.set _ZN9rocsolver6v33100L22stebz_splitting_kernelIdPdEEv15rocblas_erange_iT_S4_iiT0_iiS5_iiPiPS4_lS6_lS6_S7_S7_S7_S7_S6_S4_S4_.num_vgpr, 34
	.set _ZN9rocsolver6v33100L22stebz_splitting_kernelIdPdEEv15rocblas_erange_iT_S4_iiT0_iiS5_iiPiPS4_lS6_lS6_S7_S7_S7_S7_S6_S4_S4_.num_agpr, 0
	.set _ZN9rocsolver6v33100L22stebz_splitting_kernelIdPdEEv15rocblas_erange_iT_S4_iiT0_iiS5_iiPiPS4_lS6_lS6_S7_S7_S7_S7_S6_S4_S4_.numbered_sgpr, 58
	.set _ZN9rocsolver6v33100L22stebz_splitting_kernelIdPdEEv15rocblas_erange_iT_S4_iiT0_iiS5_iiPiPS4_lS6_lS6_S7_S7_S7_S7_S6_S4_S4_.num_named_barrier, 0
	.set _ZN9rocsolver6v33100L22stebz_splitting_kernelIdPdEEv15rocblas_erange_iT_S4_iiT0_iiS5_iiPiPS4_lS6_lS6_S7_S7_S7_S7_S6_S4_S4_.private_seg_size, 0
	.set _ZN9rocsolver6v33100L22stebz_splitting_kernelIdPdEEv15rocblas_erange_iT_S4_iiT0_iiS5_iiPiPS4_lS6_lS6_S7_S7_S7_S7_S6_S4_S4_.uses_vcc, 1
	.set _ZN9rocsolver6v33100L22stebz_splitting_kernelIdPdEEv15rocblas_erange_iT_S4_iiT0_iiS5_iiPiPS4_lS6_lS6_S7_S7_S7_S7_S6_S4_S4_.uses_flat_scratch, 0
	.set _ZN9rocsolver6v33100L22stebz_splitting_kernelIdPdEEv15rocblas_erange_iT_S4_iiT0_iiS5_iiPiPS4_lS6_lS6_S7_S7_S7_S7_S6_S4_S4_.has_dyn_sized_stack, 0
	.set _ZN9rocsolver6v33100L22stebz_splitting_kernelIdPdEEv15rocblas_erange_iT_S4_iiT0_iiS5_iiPiPS4_lS6_lS6_S7_S7_S7_S7_S6_S4_S4_.has_recursion, 0
	.set _ZN9rocsolver6v33100L22stebz_splitting_kernelIdPdEEv15rocblas_erange_iT_S4_iiT0_iiS5_iiPiPS4_lS6_lS6_S7_S7_S7_S7_S6_S4_S4_.has_indirect_call, 0
	.section	.AMDGPU.csdata,"",@progbits
; Kernel info:
; codeLenInByte = 6988
; TotalNumSgprs: 60
; NumVgprs: 34
; ScratchSize: 0
; MemoryBound: 0
; FloatMode: 240
; IeeeMode: 1
; LDSByteSize: 3072 bytes/workgroup (compile time only)
; SGPRBlocks: 0
; VGPRBlocks: 2
; NumSGPRsForWavesPerEU: 60
; NumVGPRsForWavesPerEU: 34
; NamedBarCnt: 0
; Occupancy: 16
; WaveLimiterHint : 0
; COMPUTE_PGM_RSRC2:SCRATCH_EN: 0
; COMPUTE_PGM_RSRC2:USER_SGPR: 2
; COMPUTE_PGM_RSRC2:TRAP_HANDLER: 0
; COMPUTE_PGM_RSRC2:TGID_X_EN: 1
; COMPUTE_PGM_RSRC2:TGID_Y_EN: 1
; COMPUTE_PGM_RSRC2:TGID_Z_EN: 0
; COMPUTE_PGM_RSRC2:TIDIG_COMP_CNT: 0
	.section	.text._ZN9rocsolver6v33100L22stebz_bisection_kernelIdPdEEv15rocblas_erange_iT_T0_iiS5_iiPiPS4_lS6_lS6_lS6_S6_S7_S7_S7_S7_S6_S4_S4_,"axG",@progbits,_ZN9rocsolver6v33100L22stebz_bisection_kernelIdPdEEv15rocblas_erange_iT_T0_iiS5_iiPiPS4_lS6_lS6_lS6_S6_S7_S7_S7_S7_S6_S4_S4_,comdat
	.globl	_ZN9rocsolver6v33100L22stebz_bisection_kernelIdPdEEv15rocblas_erange_iT_T0_iiS5_iiPiPS4_lS6_lS6_lS6_S6_S7_S7_S7_S7_S6_S4_S4_ ; -- Begin function _ZN9rocsolver6v33100L22stebz_bisection_kernelIdPdEEv15rocblas_erange_iT_T0_iiS5_iiPiPS4_lS6_lS6_lS6_S6_S7_S7_S7_S7_S6_S4_S4_
	.p2align	8
	.type	_ZN9rocsolver6v33100L22stebz_bisection_kernelIdPdEEv15rocblas_erange_iT_T0_iiS5_iiPiPS4_lS6_lS6_lS6_S6_S7_S7_S7_S7_S6_S4_S4_,@function
_ZN9rocsolver6v33100L22stebz_bisection_kernelIdPdEEv15rocblas_erange_iT_T0_iiS5_iiPiPS4_lS6_lS6_lS6_S6_S7_S7_S7_S7_S6_S4_S4_: ; @_ZN9rocsolver6v33100L22stebz_bisection_kernelIdPdEEv15rocblas_erange_iT_T0_iiS5_iiPiPS4_lS6_lS6_lS6_S6_S7_S7_S7_S7_S6_S4_S4_
; %bb.0:
	s_load_b512 s[4:19], s[0:1], 0x30
	s_bfe_u32 s2, ttmp6, 0x4000c
	s_bfe_u32 s20, ttmp6, 0x40010
	s_add_co_i32 s2, s2, 1
	s_and_b32 s3, ttmp6, 15
	s_mul_i32 s2, ttmp9, s2
	s_add_co_i32 s20, s20, 1
	s_add_co_i32 s3, s3, s2
	s_mul_i32 s2, ttmp7, s20
	s_bfe_u32 s20, ttmp6, 0x40004
	s_getreg_b32 s21, hwreg(HW_REG_IB_STS2, 6, 4)
	s_add_co_i32 s20, s20, s2
	s_cmp_eq_u32 s21, 0
	s_cselect_b32 s54, ttmp7, s20
	s_cselect_b32 s28, ttmp9, s3
	s_ashr_i32 s55, s54, 31
	s_delay_alu instid0(SALU_CYCLE_1)
	s_lshl_b64 s[2:3], s[54:55], 2
	s_wait_kmcnt 0x0
	s_add_nc_u64 s[4:5], s[4:5], s[2:3]
	s_load_b32 s33, s[4:5], 0x0
	s_wait_kmcnt 0x0
	s_cmp_ge_i32 s28, s33
	s_cbranch_scc1 .LBB17_91
; %bb.1:
	s_load_b256 s[44:51], s[0:1], 0x70
	s_lshl_b64 s[4:5], s[54:55], 3
	s_mov_b64 s[34:35], 0x3fe5555555555555
	s_mul_u64 s[12:13], s[12:13], s[54:55]
	s_lshl_b32 s56, s54, 1
	s_mul_u64 s[16:17], s[16:17], s[54:55]
	s_ashr_i32 s57, s56, 31
	s_lshl_b64 s[16:17], s[16:17], 2
	v_and_b32_e32 v24, 0x7c, v0
	s_add_nc_u64 s[14:15], s[14:15], s[16:17]
	v_lshl_or_b32 v23, v0, 4, 0x1000
                                        ; implicit-def: $vgpr27
	v_dual_mov_b32 v25, 0 :: v_dual_lshlrev_b32 v22, 5, v0
	v_mov_b32_e32 v26, 1
	s_wait_kmcnt 0x0
	s_add_nc_u64 s[4:5], s[46:47], s[4:5]
	s_mov_b64 s[46:47], 0x3fe62e42fefa39ef
	s_load_b64 s[30:31], s[4:5], 0x0
	s_clause 0x1
	s_load_b64 s[52:53], s[0:1], 0x0
	s_load_b256 s[20:27], s[0:1], 0x8
	s_wait_xcnt 0x0
	s_clause 0x1
	s_load_b64 s[4:5], s[0:1], 0x28
	s_load_b256 s[36:43], s[0:1], 0x90
	s_wait_kmcnt 0x0
	s_mul_u64 s[42:43], s[8:9], s[54:55]
	s_add_nc_u64 s[8:9], s[18:19], s[2:3]
	s_lshl_b64 s[18:19], s[42:43], 3
	s_lshl_b64 s[42:43], s[12:13], 2
	s_add_nc_u64 s[12:13], s[6:7], s[18:19]
	s_add_nc_u64 s[10:11], s[10:11], s[42:43]
	s_lshl_b64 s[6:7], s[56:57], 3
	v_cmp_eq_u32_e64 s0, 0, v0
	s_add_nc_u64 s[16:17], s[50:51], s[6:7]
	v_cmp_ne_u32_e64 s1, 0, v0
	v_cmp_lt_u32_e64 s2, 3, v0
	v_cmp_ne_u32_e64 s3, v0, v24
	v_frexp_mant_f64_e32 v[2:3], s[30:31]
	v_cmp_class_f64_e64 s29, s[30:31], 0x204
	s_ashr_i32 s19, s24, 31
	s_mov_b32 s18, s24
	s_ashr_i32 s43, s25, 31
	s_mov_b32 s42, s25
	;; [unrolled: 2-line block ×3, first 2 shown]
	v_cmp_lt_f64_e64 s4, s[20:21], 0
	s_ashr_i32 s57, s5, 31
	s_mov_b32 s56, s5
	s_mul_i32 s6, s53, s54
	s_add_co_i32 s5, s53, -1
	s_mul_u64 s[42:43], s[42:43], s[54:55]
	s_lshl_b64 s[50:51], s[18:19], 3
	s_mul_u64 s[18:19], s[56:57], s[54:55]
	s_ashr_i32 s7, s6, 31
	s_lshl_b64 s[56:57], s[24:25], 3
	s_mul_i32 s24, s5, s54
	s_lshl_b32 s54, s6, 2
	s_lshl_b64 s[42:43], s[42:43], 3
	s_lshl_b64 s[58:59], s[18:19], 3
	;; [unrolled: 1-line block ×3, first 2 shown]
	s_ashr_i32 s25, s24, 31
	s_ashr_i32 s55, s54, 31
	s_add_nc_u64 s[62:63], s[26:27], s[58:59]
	s_add_nc_u64 s[18:19], s[44:45], s[6:7]
	;; [unrolled: 1-line block ×4, first 2 shown]
	s_lshl_b64 s[64:65], s[24:25], 3
	s_lshl_b64 s[66:67], s[54:55], 3
	;; [unrolled: 1-line block ×3, first 2 shown]
	v_cmp_gt_f64_e32 vcc_lo, s[34:35], v[2:3]
	s_add_nc_u64 s[60:61], s[22:23], s[42:43]
	s_cmp_lg_u32 s52, 0xe7
	s_add_nc_u64 s[6:7], s[22:23], s[6:7]
	s_add_nc_u64 s[26:27], s[26:27], s[58:59]
	;; [unrolled: 1-line block ×7, first 2 shown]
	s_cselect_b32 s52, -1, 0
	s_add_nc_u64 s[22:23], s[6:7], 8
	s_add_nc_u64 s[26:27], s[26:27], 8
                                        ; implicit-def: $sgpr64
                                        ; implicit-def: $sgpr65
                                        ; implicit-def: $sgpr66
                                        ; implicit-def: $sgpr67
	v_cndmask_b32_e64 v1, 0, 1, vcc_lo
	s_delay_alu instid0(VALU_DEP_1) | instskip(SKIP_1) | instid1(VALU_DEP_2)
	v_ldexp_f64 v[2:3], v[2:3], v1
	v_frexp_exp_i32_f64_e32 v1, s[30:31]
	v_add_f64_e32 v[4:5], 1.0, v[2:3]
	v_add_f64_e32 v[10:11], -1.0, v[2:3]
	s_delay_alu instid0(VALU_DEP_3) | instskip(SKIP_1) | instid1(VALU_DEP_4)
	v_subrev_co_ci_u32_e64 v1, null, 0, v1, vcc_lo
	v_cmp_nlt_f64_e64 vcc_lo, s[30:31], 0
	v_rcp_f64_e32 v[6:7], v[4:5]
	v_add_f64_e32 v[12:13], -1.0, v[4:5]
	s_delay_alu instid0(VALU_DEP_1) | instskip(NEXT) | instid1(TRANS32_DEP_1)
	v_add_f64_e64 v[2:3], v[2:3], -v[12:13]
	v_fma_f64 v[8:9], -v[4:5], v[6:7], 1.0
	s_delay_alu instid0(VALU_DEP_1) | instskip(NEXT) | instid1(VALU_DEP_1)
	v_fmac_f64_e32 v[6:7], v[8:9], v[6:7]
	v_fma_f64 v[8:9], -v[4:5], v[6:7], 1.0
	s_delay_alu instid0(VALU_DEP_1) | instskip(NEXT) | instid1(VALU_DEP_1)
	v_fmac_f64_e32 v[6:7], v[8:9], v[6:7]
	v_mul_f64_e32 v[8:9], v[10:11], v[6:7]
	s_delay_alu instid0(VALU_DEP_1) | instskip(NEXT) | instid1(VALU_DEP_1)
	v_mul_f64_e32 v[14:15], v[4:5], v[8:9]
	v_fma_f64 v[4:5], v[8:9], v[4:5], -v[14:15]
	s_delay_alu instid0(VALU_DEP_1) | instskip(NEXT) | instid1(VALU_DEP_1)
	v_fmac_f64_e32 v[4:5], v[8:9], v[2:3]
	v_add_f64_e32 v[2:3], v[14:15], v[4:5]
	s_delay_alu instid0(VALU_DEP_1) | instskip(SKIP_1) | instid1(VALU_DEP_2)
	v_add_f64_e64 v[12:13], v[10:11], -v[2:3]
	v_add_f64_e64 v[14:15], v[2:3], -v[14:15]
	;; [unrolled: 1-line block ×3, first 2 shown]
	s_delay_alu instid0(VALU_DEP_2) | instskip(SKIP_1) | instid1(VALU_DEP_3)
	v_add_f64_e64 v[4:5], v[14:15], -v[4:5]
	v_mov_b64_e32 v[14:15], 0x3fc385386b47b09a
	v_add_f64_e64 v[2:3], v[10:11], -v[2:3]
	s_delay_alu instid0(VALU_DEP_1) | instskip(NEXT) | instid1(VALU_DEP_1)
	v_add_f64_e32 v[2:3], v[4:5], v[2:3]
	v_add_f64_e32 v[2:3], v[12:13], v[2:3]
	s_delay_alu instid0(VALU_DEP_1) | instskip(NEXT) | instid1(VALU_DEP_1)
	v_mul_f64_e32 v[2:3], v[6:7], v[2:3]
	v_add_f64_e32 v[4:5], v[8:9], v[2:3]
	s_delay_alu instid0(VALU_DEP_1) | instskip(NEXT) | instid1(VALU_DEP_1)
	v_mul_f64_e32 v[6:7], v[4:5], v[4:5]
	v_fmamk_f64 v[10:11], v[6:7], 0x3fc3ab76bf559e2b, v[14:15]
	v_mul_f64_e32 v[12:13], v[4:5], v[6:7]
	s_delay_alu instid0(VALU_DEP_2) | instskip(NEXT) | instid1(VALU_DEP_1)
	v_fmaak_f64 v[10:11], v[6:7], v[10:11], 0x3fc7474dd7f4df2e
	v_fmaak_f64 v[10:11], v[6:7], v[10:11], 0x3fcc71c016291751
	s_delay_alu instid0(VALU_DEP_1) | instskip(NEXT) | instid1(VALU_DEP_1)
	v_fmaak_f64 v[10:11], v[6:7], v[10:11], 0x3fd249249b27acf1
	v_fmaak_f64 v[10:11], v[6:7], v[10:11], 0x3fd99999998ef7b6
	s_delay_alu instid0(VALU_DEP_1) | instskip(SKIP_2) | instid1(VALU_DEP_3)
	v_fmaak_f64 v[6:7], v[6:7], v[10:11], 0x3fe5555555555780
	v_ldexp_f64 v[10:11], v[4:5], 1
	v_add_f64_e64 v[4:5], v[4:5], -v[8:9]
	v_mul_f64_e32 v[6:7], v[12:13], v[6:7]
	v_cvt_f64_i32_e32 v[12:13], v1
	v_lshl_or_b32 v1, v0, 2, 0x1800
	s_delay_alu instid0(VALU_DEP_4) | instskip(NEXT) | instid1(VALU_DEP_4)
	v_add_f64_e64 v[2:3], v[2:3], -v[4:5]
	v_add_f64_e32 v[8:9], v[10:11], v[6:7]
	s_delay_alu instid0(VALU_DEP_4) | instskip(NEXT) | instid1(VALU_DEP_3)
	v_mul_f64_e32 v[16:17], 0x3fe62e42fefa39ef, v[12:13]
	v_ldexp_f64 v[2:3], v[2:3], 1
	s_delay_alu instid0(VALU_DEP_3) | instskip(NEXT) | instid1(VALU_DEP_3)
	v_add_f64_e64 v[4:5], v[8:9], -v[10:11]
	v_fma_f64 v[10:11], v[12:13], s[46:47], -v[16:17]
	s_delay_alu instid0(VALU_DEP_2) | instskip(NEXT) | instid1(VALU_DEP_2)
	v_add_f64_e64 v[4:5], v[6:7], -v[4:5]
	v_fmac_f64_e32 v[10:11], 0x3c7abc9e3b39803f, v[12:13]
	s_delay_alu instid0(VALU_DEP_2) | instskip(NEXT) | instid1(VALU_DEP_2)
	v_add_f64_e32 v[2:3], v[2:3], v[4:5]
	v_add_f64_e32 v[4:5], v[16:17], v[10:11]
	s_delay_alu instid0(VALU_DEP_2) | instskip(NEXT) | instid1(VALU_DEP_2)
	v_add_f64_e32 v[6:7], v[8:9], v[2:3]
	v_add_f64_e64 v[16:17], v[4:5], -v[16:17]
	s_delay_alu instid0(VALU_DEP_2) | instskip(SKIP_1) | instid1(VALU_DEP_3)
	v_add_f64_e32 v[12:13], v[4:5], v[6:7]
	v_add_f64_e64 v[8:9], v[6:7], -v[8:9]
	v_add_f64_e64 v[10:11], v[10:11], -v[16:17]
	s_delay_alu instid0(VALU_DEP_3) | instskip(NEXT) | instid1(VALU_DEP_3)
	v_add_f64_e64 v[18:19], v[12:13], -v[4:5]
	v_add_f64_e64 v[2:3], v[2:3], -v[8:9]
	s_delay_alu instid0(VALU_DEP_2) | instskip(SKIP_1) | instid1(VALU_DEP_3)
	v_add_f64_e64 v[20:21], v[12:13], -v[18:19]
	v_add_f64_e64 v[6:7], v[6:7], -v[18:19]
	v_add_f64_e32 v[8:9], v[10:11], v[2:3]
	s_delay_alu instid0(VALU_DEP_3) | instskip(NEXT) | instid1(VALU_DEP_1)
	v_add_f64_e64 v[4:5], v[4:5], -v[20:21]
	v_add_f64_e32 v[4:5], v[6:7], v[4:5]
	s_delay_alu instid0(VALU_DEP_3) | instskip(NEXT) | instid1(VALU_DEP_2)
	v_add_f64_e64 v[6:7], v[8:9], -v[10:11]
	v_add_f64_e32 v[4:5], v[8:9], v[4:5]
	s_delay_alu instid0(VALU_DEP_2) | instskip(SKIP_1) | instid1(VALU_DEP_3)
	v_add_f64_e64 v[8:9], v[8:9], -v[6:7]
	v_add_f64_e64 v[2:3], v[2:3], -v[6:7]
	v_add_f64_e32 v[16:17], v[12:13], v[4:5]
	s_delay_alu instid0(VALU_DEP_3) | instskip(NEXT) | instid1(VALU_DEP_2)
	v_add_f64_e64 v[6:7], v[10:11], -v[8:9]
	v_add_f64_e64 v[8:9], v[16:17], -v[12:13]
	s_delay_alu instid0(VALU_DEP_2) | instskip(NEXT) | instid1(VALU_DEP_2)
	v_add_f64_e32 v[2:3], v[2:3], v[6:7]
	v_add_f64_e64 v[4:5], v[4:5], -v[8:9]
	s_delay_alu instid0(VALU_DEP_1) | instskip(NEXT) | instid1(VALU_DEP_1)
	v_add_f64_e32 v[2:3], v[2:3], v[4:5]
	v_add_f64_e32 v[2:3], v[16:17], v[2:3]
	v_add_f64_e64 v[16:17], s[40:41], s[40:41]
	s_delay_alu instid0(VALU_DEP_2) | instskip(NEXT) | instid1(VALU_DEP_3)
	v_cndmask_b32_e64 v3, v3, s31, s29
	v_cndmask_b32_e64 v2, v2, s30, s29
	s_delay_alu instid0(VALU_DEP_2) | instskip(SKIP_1) | instid1(VALU_DEP_3)
	v_cndmask_b32_e32 v3, 0x7ff80000, v3, vcc_lo
	v_cmp_nle_f64_e64 vcc_lo, s[30:31], 0
	v_cndmask_b32_e32 v18, 0, v2, vcc_lo
	v_cmp_neq_f64_e64 vcc_lo, s[30:31], 0
	s_delay_alu instid0(VALU_DEP_4)
	v_cndmask_b32_e32 v19, 0xfff00000, v3, vcc_lo
                                        ; implicit-def: $vgpr2_vgpr3
                                        ; implicit-def: $vgpr2_vgpr3
                                        ; implicit-def: $vgpr2_vgpr3
                                        ; implicit-def: $vgpr2_vgpr3
                                        ; implicit-def: $vgpr2_vgpr3
	s_branch .LBB17_4
.LBB17_2:                               ;   in Loop: Header=BB17_4 Depth=1
	s_wait_xcnt 0x0
	s_or_b32 exec_lo, exec_lo, s5
	v_mov_b32_e32 v5, v27
	s_mov_b32 s62, s67
	s_mov_b32 s29, s66
	;; [unrolled: 1-line block ×4, first 2 shown]
.LBB17_3:                               ;   in Loop: Header=BB17_4 Depth=1
	v_mov_b32_e32 v27, v5
	s_add_co_i32 s28, s28, 64
	s_mov_b32 s64, s49
	s_cmp_lt_i32 s28, s33
	s_mov_b32 s65, s63
	s_mov_b32 s66, s29
	;; [unrolled: 1-line block ×3, first 2 shown]
	s_wait_loadcnt 0x0
	s_wait_storecnt 0x0
	s_barrier_signal -1
	s_barrier_wait -1
	s_cbranch_scc0 .LBB17_91
.LBB17_4:                               ; =>This Loop Header: Depth=1
                                        ;     Child Loop BB17_9 Depth 2
                                        ;     Child Loop BB17_20 Depth 2
	;; [unrolled: 1-line block ×4, first 2 shown]
                                        ;       Child Loop BB17_37 Depth 3
                                        ;         Child Loop BB17_40 Depth 4
                                        ;         Child Loop BB17_54 Depth 4
	;; [unrolled: 1-line block ×3, first 2 shown]
                                        ;     Child Loop BB17_75 Depth 2
                                        ;       Child Loop BB17_77 Depth 3
	s_ashr_i32 s29, s28, 31
	s_cmp_eq_u32 s28, 0
	s_mov_b32 s48, 0
	s_cbranch_scc1 .LBB17_6
; %bb.5:                                ;   in Loop: Header=BB17_4 Depth=1
	s_lshl_b64 s[6:7], s[28:29], 2
	s_delay_alu instid0(SALU_CYCLE_1)
	s_add_nc_u64 s[6:7], s[14:15], s[6:7]
	global_load_b32 v2, v25, s[6:7] offset:-4
	s_wait_loadcnt 0x0
	v_readfirstlane_b32 s48, v2
.LBB17_6:                               ;   in Loop: Header=BB17_4 Depth=1
	s_lshl_b64 s[50:51], s[28:29], 2
	s_delay_alu instid0(SALU_CYCLE_1) | instskip(SKIP_4) | instid1(SALU_CYCLE_1)
	s_add_nc_u64 s[6:7], s[14:15], s[50:51]
	global_load_b32 v2, v25, s[6:7]
	s_wait_loadcnt 0x0
	v_readfirstlane_b32 s68, v2
	s_sub_co_i32 s69, s68, s48
	s_cmp_lg_u32 s69, 1
	s_cbranch_scc0 .LBB17_69
; %bb.7:                                ;   in Loop: Header=BB17_4 Depth=1
	v_mov_b32_e32 v2, s48
	s_ashr_i32 s49, s48, 31
	s_clause 0x1
	global_load_b64 v[10:11], v2, s[24:25] scale_offset
	global_load_b64 v[6:7], v2, s[42:43] scale_offset
	s_lshl_b64 s[6:7], s[48:49], 3
	s_cmp_lt_i32 s69, 3
	s_add_nc_u64 s[54:55], s[22:23], s[6:7]
	s_wait_loadcnt 0x0
	v_add_f64_e64 v[2:3], v[10:11], -|v[6:7]|
	v_add_f64_e64 v[4:5], v[10:11], |v[6:7]|
	v_and_b32_e32 v7, 0x7fffffff, v7
	s_cbranch_scc1 .LBB17_10
; %bb.8:                                ;   in Loop: Header=BB17_4 Depth=1
	s_add_co_i32 s29, s69, -2
	s_add_nc_u64 s[56:57], s[22:23], s[6:7]
	s_add_nc_u64 s[58:59], s[26:27], s[6:7]
.LBB17_9:                               ;   Parent Loop BB17_4 Depth=1
                                        ; =>  This Inner Loop Header: Depth=2
	s_clause 0x1
	global_load_b64 v[8:9], v25, s[56:57]
	global_load_b64 v[12:13], v25, s[58:59]
	s_add_co_i32 s29, s29, -1
	s_wait_xcnt 0x1
	s_add_nc_u64 s[56:57], s[56:57], 8
	s_cmp_lg_u32 s29, 0
	s_wait_xcnt 0x0
	s_add_nc_u64 s[58:59], s[58:59], 8
	s_wait_loadcnt 0x1
	v_add_f64_e64 v[20:21], v[8:9], -v[6:7]
	v_add_f64_e32 v[6:7], v[6:7], v[8:9]
	s_wait_loadcnt 0x0
	s_delay_alu instid0(VALU_DEP_2) | instskip(NEXT) | instid1(VALU_DEP_2)
	v_add_f64_e64 v[8:9], v[20:21], -|v[12:13]|
	v_add_f64_e64 v[20:21], v[6:7], |v[12:13]|
	v_and_b32_e32 v7, 0x7fffffff, v13
	s_delay_alu instid0(VALU_DEP_3) | instskip(NEXT) | instid1(VALU_DEP_3)
	v_cmp_lt_f64_e32 vcc_lo, v[8:9], v[2:3]
	v_cmp_lt_f64_e64 s5, v[4:5], v[20:21]
	v_dual_mov_b32 v6, v12 :: v_dual_cndmask_b32 v3, v3, v9
	s_delay_alu instid0(VALU_DEP_2)
	v_dual_cndmask_b32 v5, v5, v21, s5 :: v_dual_cndmask_b32 v2, v2, v8, vcc_lo
	v_cndmask_b32_e64 v4, v4, v20, s5
	s_cbranch_scc1 .LBB17_9
.LBB17_10:                              ;   in Loop: Header=BB17_4 Depth=1
	v_mov_b32_e32 v8, s69
	s_add_nc_u64 s[56:57], s[24:25], s[6:7]
	global_load_b64 v[8:9], v8, s[56:57] offset:-8 scale_offset
	s_wait_loadcnt 0x0
	v_add_f64_e64 v[12:13], v[8:9], -v[6:7]
	v_add_f64_e32 v[6:7], v[6:7], v[8:9]
	s_delay_alu instid0(VALU_DEP_2) | instskip(NEXT) | instid1(VALU_DEP_2)
	v_cmp_lt_f64_e32 vcc_lo, v[12:13], v[2:3]
	v_cmp_lt_f64_e64 s5, v[4:5], v[6:7]
	s_delay_alu instid0(VALU_DEP_1) | instskip(SKIP_2) | instid1(VALU_DEP_2)
	v_dual_cndmask_b32 v9, v3, v13, vcc_lo :: v_dual_cndmask_b32 v5, v5, v7, s5
	v_dual_cndmask_b32 v8, v2, v12, vcc_lo :: v_dual_cndmask_b32 v4, v4, v6, s5
	v_cvt_f64_i32_e32 v[6:7], s69
	v_cmp_lt_f64_e64 vcc_lo, |v[8:9]|, |v[4:5]|
	v_dual_cndmask_b32 v3, v9, v5 :: v_dual_cndmask_b32 v2, v8, v4
	s_and_not1_b32 vcc_lo, exec_lo, s52
	s_delay_alu instid0(VALU_DEP_1) | instskip(NEXT) | instid1(VALU_DEP_1)
	v_mul_f64_e64 v[2:3], s[40:41], |v[2:3]|
	v_fma_f64 v[8:9], -v[2:3], v[6:7], v[8:9]
	v_fmac_f64_e32 v[4:5], v[2:3], v[6:7]
	s_delay_alu instid0(VALU_DEP_2) | instskip(NEXT) | instid1(VALU_DEP_2)
	v_add_f64_e64 v[6:7], v[8:9], -s[30:31]
	v_add_f64_e32 v[8:9], s[30:31], v[4:5]
	s_cbranch_vccnz .LBB17_12
; %bb.11:                               ;   in Loop: Header=BB17_4 Depth=1
	global_load_b128 v[28:31], v25, s[16:17]
	s_wait_loadcnt 0x0
	v_cmp_lt_f64_e32 vcc_lo, v[6:7], v[28:29]
	v_cmp_lt_f64_e64 s5, v[30:31], v[8:9]
	s_delay_alu instid0(VALU_DEP_1)
	v_dual_cndmask_b32 v7, v7, v29, vcc_lo :: v_dual_cndmask_b32 v9, v9, v31, s5
	v_dual_cndmask_b32 v6, v6, v28, vcc_lo :: v_dual_cndmask_b32 v8, v8, v30, s5
.LBB17_12:                              ;   in Loop: Header=BB17_4 Depth=1
	s_delay_alu instid0(VALU_DEP_1)
	v_cmp_nlt_f64_e32 vcc_lo, v[6:7], v[8:9]
	s_mov_b32 s5, -1
	s_cbranch_vccz .LBB17_16
; %bb.13:                               ;   in Loop: Header=BB17_4 Depth=1
	s_and_saveexec_b32 s5, s0
	s_cbranch_execz .LBB17_15
; %bb.14:                               ;   in Loop: Header=BB17_4 Depth=1
	s_add_nc_u64 s[58:59], s[18:19], s[50:51]
	ds_store_b16 v25, v25 offset:6660
	global_store_b32 v25, v25, s[58:59]
.LBB17_15:                              ;   in Loop: Header=BB17_4 Depth=1
	s_wait_xcnt 0x0
	s_or_b32 exec_lo, exec_lo, s5
	s_mov_b32 s5, 0
.LBB17_16:                              ;   in Loop: Header=BB17_4 Depth=1
	v_mov_b32_e32 v5, v27
	s_mov_b32 s62, s67
	s_and_not1_b32 vcc_lo, exec_lo, s5
	s_mov_b32 s29, s66
	s_mov_b32 s49, s64
	s_cbranch_vccnz .LBB17_29
; %bb.17:                               ;   in Loop: Header=BB17_4 Depth=1
	v_add_f64_e64 v[4:5], v[8:9], -v[6:7]
	s_delay_alu instid0(VALU_DEP_1) | instskip(NEXT) | instid1(VALU_DEP_1)
	v_add_f64_e32 v[4:5], s[30:31], v[4:5]
	v_frexp_mant_f64_e32 v[12:13], v[4:5]
	s_delay_alu instid0(VALU_DEP_1) | instskip(SKIP_1) | instid1(VALU_DEP_1)
	v_cmp_gt_f64_e32 vcc_lo, s[34:35], v[12:13]
	v_cndmask_b32_e64 v20, 0, 1, vcc_lo
	v_ldexp_f64 v[12:13], v[12:13], v20
	s_delay_alu instid0(VALU_DEP_1) | instskip(SKIP_1) | instid1(VALU_DEP_2)
	v_add_f64_e32 v[20:21], 1.0, v[12:13]
	v_add_f64_e32 v[32:33], -1.0, v[12:13]
	v_rcp_f64_e32 v[28:29], v[20:21]
	v_add_f64_e32 v[34:35], -1.0, v[20:21]
	s_delay_alu instid0(VALU_DEP_1) | instskip(NEXT) | instid1(TRANS32_DEP_1)
	v_add_f64_e64 v[12:13], v[12:13], -v[34:35]
	v_fma_f64 v[30:31], -v[20:21], v[28:29], 1.0
	s_delay_alu instid0(VALU_DEP_1) | instskip(NEXT) | instid1(VALU_DEP_1)
	v_fmac_f64_e32 v[28:29], v[30:31], v[28:29]
	v_fma_f64 v[30:31], -v[20:21], v[28:29], 1.0
	s_delay_alu instid0(VALU_DEP_1) | instskip(NEXT) | instid1(VALU_DEP_1)
	v_fmac_f64_e32 v[28:29], v[30:31], v[28:29]
	v_mul_f64_e32 v[30:31], v[32:33], v[28:29]
	s_delay_alu instid0(VALU_DEP_1) | instskip(NEXT) | instid1(VALU_DEP_1)
	v_mul_f64_e32 v[36:37], v[20:21], v[30:31]
	v_fma_f64 v[20:21], v[30:31], v[20:21], -v[36:37]
	s_delay_alu instid0(VALU_DEP_1) | instskip(NEXT) | instid1(VALU_DEP_1)
	v_fmac_f64_e32 v[20:21], v[30:31], v[12:13]
	v_add_f64_e32 v[12:13], v[36:37], v[20:21]
	s_delay_alu instid0(VALU_DEP_1) | instskip(SKIP_1) | instid1(VALU_DEP_2)
	v_add_f64_e64 v[34:35], v[32:33], -v[12:13]
	v_add_f64_e64 v[36:37], v[12:13], -v[36:37]
	;; [unrolled: 1-line block ×3, first 2 shown]
	s_delay_alu instid0(VALU_DEP_2) | instskip(SKIP_1) | instid1(VALU_DEP_3)
	v_add_f64_e64 v[20:21], v[36:37], -v[20:21]
	v_frexp_exp_i32_f64_e32 v36, v[4:5]
	v_add_f64_e64 v[12:13], v[32:33], -v[12:13]
	s_delay_alu instid0(VALU_DEP_1) | instskip(NEXT) | instid1(VALU_DEP_1)
	v_add_f64_e32 v[12:13], v[20:21], v[12:13]
	v_add_f64_e32 v[12:13], v[34:35], v[12:13]
	s_delay_alu instid0(VALU_DEP_1) | instskip(NEXT) | instid1(VALU_DEP_1)
	v_mul_f64_e32 v[12:13], v[28:29], v[12:13]
	v_add_f64_e32 v[20:21], v[30:31], v[12:13]
	s_delay_alu instid0(VALU_DEP_1) | instskip(NEXT) | instid1(VALU_DEP_1)
	v_mul_f64_e32 v[28:29], v[20:21], v[20:21]
	v_fmamk_f64 v[32:33], v[28:29], 0x3fc3ab76bf559e2b, v[14:15]
	v_mul_f64_e32 v[34:35], v[20:21], v[28:29]
	s_delay_alu instid0(VALU_DEP_2) | instskip(NEXT) | instid1(VALU_DEP_1)
	v_fmaak_f64 v[32:33], v[28:29], v[32:33], 0x3fc7474dd7f4df2e
	v_fmaak_f64 v[32:33], v[28:29], v[32:33], 0x3fcc71c016291751
	s_delay_alu instid0(VALU_DEP_1) | instskip(NEXT) | instid1(VALU_DEP_1)
	v_fmaak_f64 v[32:33], v[28:29], v[32:33], 0x3fd249249b27acf1
	v_fmaak_f64 v[32:33], v[28:29], v[32:33], 0x3fd99999998ef7b6
	s_delay_alu instid0(VALU_DEP_1) | instskip(SKIP_2) | instid1(VALU_DEP_3)
	v_fmaak_f64 v[28:29], v[28:29], v[32:33], 0x3fe5555555555780
	v_ldexp_f64 v[32:33], v[20:21], 1
	v_add_f64_e64 v[20:21], v[20:21], -v[30:31]
	v_mul_f64_e32 v[28:29], v[34:35], v[28:29]
	v_subrev_co_ci_u32_e64 v34, null, 0, v36, vcc_lo
	v_cmp_class_f64_e64 vcc_lo, v[4:5], 0x204
	s_delay_alu instid0(VALU_DEP_2) | instskip(SKIP_2) | instid1(VALU_DEP_3)
	v_cvt_f64_i32_e32 v[34:35], v34
	v_add_f64_e64 v[12:13], v[12:13], -v[20:21]
	v_add_f64_e32 v[30:31], v[32:33], v[28:29]
	v_mul_f64_e32 v[36:37], 0x3fe62e42fefa39ef, v[34:35]
	s_delay_alu instid0(VALU_DEP_3) | instskip(NEXT) | instid1(VALU_DEP_3)
	v_ldexp_f64 v[12:13], v[12:13], 1
	v_add_f64_e64 v[20:21], v[30:31], -v[32:33]
	s_delay_alu instid0(VALU_DEP_3) | instskip(NEXT) | instid1(VALU_DEP_2)
	v_fma_f64 v[32:33], v[34:35], s[46:47], -v[36:37]
	v_add_f64_e64 v[20:21], v[28:29], -v[20:21]
	s_delay_alu instid0(VALU_DEP_2) | instskip(NEXT) | instid1(VALU_DEP_2)
	v_fmac_f64_e32 v[32:33], 0x3c7abc9e3b39803f, v[34:35]
	v_add_f64_e32 v[12:13], v[12:13], v[20:21]
	s_delay_alu instid0(VALU_DEP_2) | instskip(NEXT) | instid1(VALU_DEP_2)
	v_add_f64_e32 v[20:21], v[36:37], v[32:33]
	v_add_f64_e32 v[28:29], v[30:31], v[12:13]
	s_delay_alu instid0(VALU_DEP_2) | instskip(NEXT) | instid1(VALU_DEP_2)
	v_add_f64_e64 v[36:37], v[20:21], -v[36:37]
	v_add_f64_e32 v[34:35], v[20:21], v[28:29]
	v_add_f64_e64 v[30:31], v[28:29], -v[30:31]
	s_delay_alu instid0(VALU_DEP_3) | instskip(NEXT) | instid1(VALU_DEP_3)
	v_add_f64_e64 v[32:33], v[32:33], -v[36:37]
	v_add_f64_e64 v[38:39], v[34:35], -v[20:21]
	s_delay_alu instid0(VALU_DEP_3) | instskip(NEXT) | instid1(VALU_DEP_2)
	v_add_f64_e64 v[12:13], v[12:13], -v[30:31]
	v_add_f64_e64 v[40:41], v[34:35], -v[38:39]
	;; [unrolled: 1-line block ×3, first 2 shown]
	s_delay_alu instid0(VALU_DEP_3) | instskip(NEXT) | instid1(VALU_DEP_3)
	v_add_f64_e32 v[30:31], v[32:33], v[12:13]
	v_add_f64_e64 v[20:21], v[20:21], -v[40:41]
	s_delay_alu instid0(VALU_DEP_1) | instskip(NEXT) | instid1(VALU_DEP_3)
	v_add_f64_e32 v[20:21], v[28:29], v[20:21]
	v_add_f64_e64 v[28:29], v[30:31], -v[32:33]
	s_delay_alu instid0(VALU_DEP_2) | instskip(NEXT) | instid1(VALU_DEP_2)
	v_add_f64_e32 v[20:21], v[30:31], v[20:21]
	v_add_f64_e64 v[30:31], v[30:31], -v[28:29]
	v_add_f64_e64 v[12:13], v[12:13], -v[28:29]
	s_delay_alu instid0(VALU_DEP_3) | instskip(NEXT) | instid1(VALU_DEP_3)
	v_add_f64_e32 v[36:37], v[34:35], v[20:21]
	v_add_f64_e64 v[28:29], v[32:33], -v[30:31]
	s_delay_alu instid0(VALU_DEP_2) | instskip(NEXT) | instid1(VALU_DEP_2)
	v_add_f64_e64 v[30:31], v[36:37], -v[34:35]
	v_add_f64_e32 v[12:13], v[12:13], v[28:29]
	s_delay_alu instid0(VALU_DEP_2) | instskip(NEXT) | instid1(VALU_DEP_1)
	v_add_f64_e64 v[20:21], v[20:21], -v[30:31]
	v_add_f64_e32 v[12:13], v[12:13], v[20:21]
	s_delay_alu instid0(VALU_DEP_1) | instskip(NEXT) | instid1(VALU_DEP_1)
	v_add_f64_e32 v[12:13], v[36:37], v[12:13]
	v_dual_cndmask_b32 v12, v12, v4 :: v_dual_cndmask_b32 v13, v13, v5
	v_cmp_ngt_f64_e32 vcc_lo, 0, v[4:5]
	s_delay_alu instid0(VALU_DEP_2) | instskip(SKIP_1) | instid1(VALU_DEP_4)
	v_cndmask_b32_e32 v13, 0x7ff80000, v13, vcc_lo
	v_cmp_nge_f64_e32 vcc_lo, 0, v[4:5]
	v_cndmask_b32_e32 v12, 0, v12, vcc_lo
	v_cmp_neq_f64_e32 vcc_lo, 0, v[4:5]
	s_delay_alu instid0(VALU_DEP_4) | instskip(NEXT) | instid1(VALU_DEP_1)
	v_cndmask_b32_e32 v13, 0xfff00000, v13, vcc_lo
	v_add_f64_e64 v[4:5], v[12:13], -v[18:19]
	s_delay_alu instid0(VALU_DEP_1) | instskip(SKIP_1) | instid1(VALU_DEP_2)
	v_div_scale_f64 v[12:13], null, s[46:47], s[46:47], v[4:5]
	v_div_scale_f64 v[30:31], vcc_lo, v[4:5], s[46:47], v[4:5]
	v_rcp_f64_e32 v[20:21], v[12:13]
	v_nop
	s_delay_alu instid0(TRANS32_DEP_1) | instskip(NEXT) | instid1(VALU_DEP_1)
	v_fma_f64 v[28:29], -v[12:13], v[20:21], 1.0
	v_fmac_f64_e32 v[20:21], v[20:21], v[28:29]
	s_delay_alu instid0(VALU_DEP_1) | instskip(NEXT) | instid1(VALU_DEP_1)
	v_fma_f64 v[28:29], -v[12:13], v[20:21], 1.0
	v_fmac_f64_e32 v[20:21], v[20:21], v[28:29]
	s_delay_alu instid0(VALU_DEP_1) | instskip(NEXT) | instid1(VALU_DEP_1)
	v_mul_f64_e32 v[28:29], v[30:31], v[20:21]
	v_fma_f64 v[12:13], -v[12:13], v[28:29], v[30:31]
	s_delay_alu instid0(VALU_DEP_1) | instskip(NEXT) | instid1(VALU_DEP_1)
	v_div_fmas_f64 v[12:13], v[12:13], v[20:21], v[28:29]
	v_div_fixup_f64 v[4:5], v[12:13], s[46:47], v[4:5]
	s_delay_alu instid0(VALU_DEP_1) | instskip(SKIP_1) | instid1(VALU_DEP_2)
	v_cvt_i32_f64_e32 v4, v[4:5]
	v_mov_b32_e32 v5, v27
	v_readfirstlane_b32 s29, v4
	s_and_saveexec_b32 s49, s0
	s_cbranch_execz .LBB17_28
; %bb.18:                               ;   in Loop: Header=BB17_4 Depth=1
	v_add_f64_e64 v[12:13], v[10:11], -v[6:7]
	s_cmp_gt_i32 s69, 1
	s_add_nc_u64 s[58:59], s[44:45], s[6:7]
	s_cselect_b32 s70, -1, 0
	s_cmp_lt_i32 s69, 2
	ds_store_b8 v25, v25 offset:6661
	v_cmp_ge_f64_e32 vcc_lo, s[30:31], v[12:13]
	v_cndmask_b32_e64 v4, 0, 1, vcc_lo
	s_cbranch_scc1 .LBB17_21
; %bb.19:                               ;   in Loop: Header=BB17_4 Depth=1
	v_cmp_gt_f64_e64 s60, v[12:13], -s[30:31]
	s_xor_b32 s5, s31, 0x80000000
	s_not_b32 s61, s48
	s_mov_b64 s[62:63], s[58:59]
	s_add_co_i32 s71, s61, s68
	s_and_b32 s60, vcc_lo, s60
	s_delay_alu instid0(SALU_CYCLE_1)
	v_cndmask_b32_e64 v13, v13, s5, s60
	v_cndmask_b32_e64 v12, v12, s30, s60
	s_add_nc_u64 s[60:61], s[22:23], s[6:7]
.LBB17_20:                              ;   Parent Loop BB17_4 Depth=1
                                        ; =>  This Inner Loop Header: Depth=2
	s_clause 0x1
	global_load_b64 v[20:21], v25, s[62:63]
	global_load_b64 v[28:29], v25, s[60:61]
	s_add_co_i32 s71, s71, -1
	s_wait_xcnt 0x0
	s_add_nc_u64 s[60:61], s[60:61], 8
	s_add_nc_u64 s[62:63], s[62:63], 8
	s_wait_loadcnt 0x1
	v_div_scale_f64 v[30:31], null, v[12:13], v[12:13], v[20:21]
	v_div_scale_f64 v[36:37], vcc_lo, v[20:21], v[12:13], v[20:21]
	s_wait_loadcnt 0x0
	v_add_f64_e64 v[28:29], v[28:29], -v[6:7]
	s_delay_alu instid0(VALU_DEP_3) | instskip(SKIP_1) | instid1(TRANS32_DEP_1)
	v_rcp_f64_e32 v[32:33], v[30:31]
	v_nop
	v_fma_f64 v[34:35], -v[30:31], v[32:33], 1.0
	s_delay_alu instid0(VALU_DEP_1) | instskip(NEXT) | instid1(VALU_DEP_1)
	v_fmac_f64_e32 v[32:33], v[32:33], v[34:35]
	v_fma_f64 v[34:35], -v[30:31], v[32:33], 1.0
	s_delay_alu instid0(VALU_DEP_1) | instskip(NEXT) | instid1(VALU_DEP_1)
	v_fmac_f64_e32 v[32:33], v[32:33], v[34:35]
	v_mul_f64_e32 v[34:35], v[36:37], v[32:33]
	s_delay_alu instid0(VALU_DEP_1) | instskip(NEXT) | instid1(VALU_DEP_1)
	v_fma_f64 v[30:31], -v[30:31], v[34:35], v[36:37]
	v_div_fmas_f64 v[30:31], v[30:31], v[32:33], v[34:35]
	s_delay_alu instid0(VALU_DEP_1) | instskip(NEXT) | instid1(VALU_DEP_1)
	v_div_fixup_f64 v[12:13], v[30:31], v[12:13], v[20:21]
	v_add_f64_e64 v[12:13], v[28:29], -v[12:13]
	s_delay_alu instid0(VALU_DEP_1)
	v_cmp_ge_f64_e32 vcc_lo, s[30:31], v[12:13]
	v_cmp_gt_f64_e64 s72, v[12:13], -s[30:31]
	v_add_co_ci_u32_e64 v4, null, 0, v4, vcc_lo
	s_and_b32 s72, vcc_lo, s72
	s_cmp_lg_u32 s71, 0
	v_cndmask_b32_e64 v13, v13, s5, s72
	v_cndmask_b32_e64 v12, v12, s30, s72
	s_cbranch_scc1 .LBB17_20
.LBB17_21:                              ;   in Loop: Header=BB17_4 Depth=1
	v_add_f64_e64 v[10:11], v[10:11], -v[8:9]
	s_and_not1_b32 vcc_lo, exec_lo, s70
	s_delay_alu instid0(VALU_DEP_1) | instskip(NEXT) | instid1(VALU_DEP_1)
	v_cmp_ge_f64_e64 s5, s[30:31], v[10:11]
	v_cndmask_b32_e64 v5, 0, 1, s5
	s_cbranch_vccnz .LBB17_24
; %bb.22:                               ;   in Loop: Header=BB17_4 Depth=1
	v_cmp_gt_f64_e64 s60, v[10:11], -s[30:31]
	s_xor_b32 s62, s31, 0x80000000
	s_and_b32 s5, s5, s60
	s_add_nc_u64 s[60:61], s[22:23], s[6:7]
	v_cndmask_b32_e64 v11, v11, s62, s5
	v_cndmask_b32_e64 v10, v10, s30, s5
	s_not_b32 s5, s48
	s_delay_alu instid0(SALU_CYCLE_1)
	s_add_co_i32 s5, s5, s68
.LBB17_23:                              ;   Parent Loop BB17_4 Depth=1
                                        ; =>  This Inner Loop Header: Depth=2
	s_clause 0x1
	global_load_b64 v[12:13], v25, s[58:59]
	global_load_b64 v[20:21], v25, s[60:61]
	s_add_co_i32 s5, s5, -1
	s_wait_xcnt 0x0
	s_add_nc_u64 s[60:61], s[60:61], 8
	s_add_nc_u64 s[58:59], s[58:59], 8
	s_wait_loadcnt 0x1
	v_div_scale_f64 v[28:29], null, v[10:11], v[10:11], v[12:13]
	v_div_scale_f64 v[34:35], vcc_lo, v[12:13], v[10:11], v[12:13]
	s_wait_loadcnt 0x0
	v_add_f64_e64 v[20:21], v[20:21], -v[8:9]
	s_delay_alu instid0(VALU_DEP_3) | instskip(SKIP_1) | instid1(TRANS32_DEP_1)
	v_rcp_f64_e32 v[30:31], v[28:29]
	v_nop
	v_fma_f64 v[32:33], -v[28:29], v[30:31], 1.0
	s_delay_alu instid0(VALU_DEP_1) | instskip(NEXT) | instid1(VALU_DEP_1)
	v_fmac_f64_e32 v[30:31], v[30:31], v[32:33]
	v_fma_f64 v[32:33], -v[28:29], v[30:31], 1.0
	s_delay_alu instid0(VALU_DEP_1) | instskip(NEXT) | instid1(VALU_DEP_1)
	v_fmac_f64_e32 v[30:31], v[30:31], v[32:33]
	v_mul_f64_e32 v[32:33], v[34:35], v[30:31]
	s_delay_alu instid0(VALU_DEP_1) | instskip(NEXT) | instid1(VALU_DEP_1)
	v_fma_f64 v[28:29], -v[28:29], v[32:33], v[34:35]
	v_div_fmas_f64 v[28:29], v[28:29], v[30:31], v[32:33]
	s_delay_alu instid0(VALU_DEP_1) | instskip(NEXT) | instid1(VALU_DEP_1)
	v_div_fixup_f64 v[10:11], v[28:29], v[10:11], v[12:13]
	v_add_f64_e64 v[10:11], v[20:21], -v[10:11]
	s_delay_alu instid0(VALU_DEP_1)
	v_cmp_ge_f64_e32 vcc_lo, s[30:31], v[10:11]
	v_cmp_gt_f64_e64 s63, v[10:11], -s[30:31]
	v_add_co_ci_u32_e64 v5, null, 0, v5, vcc_lo
	s_and_b32 s63, vcc_lo, s63
	s_cmp_lg_u32 s5, 0
	v_cndmask_b32_e64 v11, v11, s62, s63
	v_cndmask_b32_e64 v10, v10, s30, s63
	s_cbranch_scc1 .LBB17_23
.LBB17_24:                              ;   in Loop: Header=BB17_4 Depth=1
	s_delay_alu instid0(VALU_DEP_1) | instskip(SKIP_1) | instid1(VALU_DEP_1)
	v_sub_nc_u32_e32 v10, v5, v4
	s_mov_b32 s5, -1
	v_cmp_gt_i32_e32 vcc_lo, 1, v10
	s_cbranch_vccz .LBB17_26
; %bb.25:                               ;   in Loop: Header=BB17_4 Depth=1
	s_add_nc_u64 s[58:59], s[18:19], s[50:51]
	s_mov_b32 s5, 0
	ds_store_b8 v25, v25 offset:6660
	global_store_b32 v25, v25, s[58:59]
.LBB17_26:                              ;   in Loop: Header=BB17_4 Depth=1
	s_and_not1_b32 vcc_lo, exec_lo, s5
	s_cbranch_vccnz .LBB17_28
; %bb.27:                               ;   in Loop: Header=BB17_4 Depth=1
	s_add_co_i32 s5, s48, s53
	s_add_nc_u64 s[60:61], s[18:19], s[50:51]
	s_wait_xcnt 0x0
	s_lshl_b32 s58, s5, 1
	ds_store_b8 v25, v26 offset:6660
	s_ashr_i32 s59, s58, 31
	s_delay_alu instid0(SALU_CYCLE_1)
	s_lshl_b64 s[62:63], s[58:59], 3
	s_lshl_b64 s[58:59], s[58:59], 2
	s_add_nc_u64 s[62:63], s[36:37], s[62:63]
	s_add_nc_u64 s[58:59], s[38:39], s[58:59]
	s_clause 0x2
	global_store_b128 v25, v[6:9], s[62:63]
	global_store_b32 v25, v10, s[60:61]
	global_store_b64 v25, v[4:5], s[58:59]
.LBB17_28:                              ;   in Loop: Header=BB17_4 Depth=1
	s_wait_xcnt 0x0
	s_or_b32 exec_lo, exec_lo, s49
	s_add_co_i32 s29, s29, 2
	s_mov_b32 s49, 0
	s_mov_b32 s62, 1
.LBB17_29:                              ;   in Loop: Header=BB17_4 Depth=1
	s_wait_storecnt_dscnt 0x0
	s_barrier_signal -1
	s_barrier_wait -1
	ds_load_u16 v4, v25 offset:6660
	s_wait_dscnt 0x0
	v_readfirstlane_b32 s5, v4
	s_bitcmp1_b32 s5, 0
	s_cselect_b32 s60, -1, 0
	s_bitcmp1_b32 s5, 8
	s_cselect_b32 s5, -1, 0
	s_delay_alu instid0(SALU_CYCLE_1) | instskip(NEXT) | instid1(SALU_CYCLE_1)
	s_xor_b32 s58, s5, -1
	s_and_b32 s58, s60, s58
	s_cmp_lt_i32 s49, s29
	s_cselect_b32 s59, -1, 0
	s_delay_alu instid0(SALU_CYCLE_1) | instskip(NEXT) | instid1(SALU_CYCLE_1)
	s_and_b32 s58, s58, s59
	s_and_not1_b32 vcc_lo, exec_lo, s58
	s_cbranch_vccnz .LBB17_70
; %bb.30:                               ;   in Loop: Header=BB17_4 Depth=1
	v_cndmask_b32_e64 v3, s21, v3, s4
	v_cndmask_b32_e64 v2, s20, v2, s4
	s_add_co_i32 s5, s48, s53
	s_lshl_b32 s70, s48, 1
	s_lshl_b32 s71, s5, 1
	s_cmp_gt_i32 s69, 1
	v_cmp_gt_f64_e32 vcc_lo, s[30:31], v[2:3]
	s_cselect_b32 s69, -1, 0
	s_not_b32 s5, s48
	s_add_nc_u64 s[58:59], s[44:45], s[6:7]
	s_add_co_i32 s68, s5, s68
	v_cndmask_b32_e64 v21, v3, s31, vcc_lo
	v_cndmask_b32_e64 v20, v2, s30, vcc_lo
	s_branch .LBB17_32
.LBB17_31:                              ;   in Loop: Header=BB17_32 Depth=2
	s_or_b32 exec_lo, exec_lo, s5
	s_wait_dscnt 0x0
	s_barrier_signal -1
	s_barrier_wait -1
	ds_load_u16 v2, v25 offset:6660
	s_add_co_i32 s49, s49, 1
	s_wait_dscnt 0x0
	v_readfirstlane_b32 s5, v2
	s_bitcmp1_b32 s5, 0
	s_cselect_b32 s60, -1, 0
	s_bitcmp1_b32 s5, 8
	s_cselect_b32 s5, -1, 0
	s_delay_alu instid0(SALU_CYCLE_1) | instskip(NEXT) | instid1(SALU_CYCLE_1)
	s_xor_b32 s6, s5, -1
	s_and_b32 s6, s60, s6
	s_cmp_lt_i32 s49, s29
	s_cselect_b32 s7, -1, 0
	s_delay_alu instid0(SALU_CYCLE_1) | instskip(NEXT) | instid1(SALU_CYCLE_1)
	s_and_b32 s6, s6, s7
	s_and_b32 vcc_lo, exec_lo, s6
	s_cbranch_vccz .LBB17_71
.LBB17_32:                              ;   Parent Loop BB17_4 Depth=1
                                        ; =>  This Loop Header: Depth=2
                                        ;       Child Loop BB17_37 Depth 3
                                        ;         Child Loop BB17_40 Depth 4
                                        ;         Child Loop BB17_54 Depth 4
	;; [unrolled: 1-line block ×3, first 2 shown]
	s_and_saveexec_b32 s5, s0
; %bb.33:                               ;   in Loop: Header=BB17_32 Depth=2
	ds_store_b32 v25, v25 offset:6656
; %bb.34:                               ;   in Loop: Header=BB17_32 Depth=2
	s_or_b32 exec_lo, exec_lo, s5
	s_bitcmp0_b32 s49, 0
	s_cselect_b32 s5, -1, 0
	s_delay_alu instid0(SALU_CYCLE_1)
	s_and_b32 s6, s5, exec_lo
	s_cselect_b32 s63, s70, s71
	s_cmp_lt_i32 s62, 1
	s_cbranch_scc1 .LBB17_66
; %bb.35:                               ;   in Loop: Header=BB17_32 Depth=2
	s_and_b32 s5, s5, exec_lo
	s_cselect_b32 s72, s71, s70
	s_mov_b32 s73, 0
	s_branch .LBB17_37
.LBB17_36:                              ;   in Loop: Header=BB17_37 Depth=3
	s_or_b32 exec_lo, exec_lo, s6
	s_addk_co_i32 s73, 0x80
	s_wait_dscnt 0x0
	s_cmp_ge_i32 s73, s62
	s_barrier_signal -1
	s_barrier_wait -1
	s_cbranch_scc1 .LBB17_66
.LBB17_37:                              ;   Parent Loop BB17_4 Depth=1
                                        ;     Parent Loop BB17_32 Depth=2
                                        ; =>    This Loop Header: Depth=3
                                        ;         Child Loop BB17_40 Depth 4
                                        ;         Child Loop BB17_54 Depth 4
                                        ;         Child Loop BB17_58 Depth 4
	v_add_nc_u32_e32 v2, s73, v0
	s_delay_alu instid0(VALU_DEP_1)
	v_cmp_gt_i32_e64 s5, s62, v2
	s_and_saveexec_b32 s74, s5
	s_cbranch_execz .LBB17_50
; %bb.38:                               ;   in Loop: Header=BB17_37 Depth=3
	v_lshl_add_u32 v4, v2, 1, s72
	s_and_not1_b32 vcc_lo, exec_lo, s69
	s_delay_alu instid0(VALU_DEP_1) | instskip(NEXT) | instid1(VALU_DEP_1)
	v_ashrrev_i32_e32 v5, 31, v4
	v_lshl_add_u64 v[2:3], v[4:5], 3, s[36:37]
	global_load_b128 v[6:9], v[2:3], off
	global_load_b64 v[2:3], v25, s[56:57]
	s_wait_loadcnt 0x1
	v_add_f64_e32 v[10:11], v[6:7], v[8:9]
	s_wait_loadcnt 0x0
	s_delay_alu instid0(VALU_DEP_1) | instskip(SKIP_4) | instid1(VALU_DEP_1)
	v_fmac_f64_e32 v[2:3], -0.5, v[10:11]
	v_mul_f64_e32 v[10:11], 0.5, v[10:11]
	v_lshl_add_u64 v[4:5], v[4:5], 2, s[38:39]
	global_load_b64 v[4:5], v[4:5], off
	v_cmp_ge_f64_e64 s6, s[30:31], v[2:3]
	v_cndmask_b32_e64 v12, 0, 1, s6
	s_cbranch_vccnz .LBB17_41
; %bb.39:                               ;   in Loop: Header=BB17_37 Depth=3
	v_cmp_gt_f64_e64 s7, v[2:3], -s[30:31]
	s_xor_b32 s75, s31, 0x80000000
	s_mov_b64 s[60:61], s[54:55]
	s_mov_b32 s76, s68
	s_and_b32 s6, s6, s7
	s_delay_alu instid0(SALU_CYCLE_1)
	v_cndmask_b32_e64 v3, v3, s75, s6
	v_cndmask_b32_e64 v2, v2, s30, s6
	s_mov_b64 s[6:7], s[58:59]
.LBB17_40:                              ;   Parent Loop BB17_4 Depth=1
                                        ;     Parent Loop BB17_32 Depth=2
                                        ;       Parent Loop BB17_37 Depth=3
                                        ; =>      This Inner Loop Header: Depth=4
	s_clause 0x1
	global_load_b64 v[28:29], v25, s[6:7]
	global_load_b64 v[30:31], v25, s[60:61]
	s_add_co_i32 s76, s76, -1
	s_wait_xcnt 0x0
	s_add_nc_u64 s[60:61], s[60:61], 8
	s_add_nc_u64 s[6:7], s[6:7], 8
	s_wait_loadcnt 0x1
	v_div_scale_f64 v[32:33], null, v[2:3], v[2:3], v[28:29]
	v_div_scale_f64 v[38:39], vcc_lo, v[28:29], v[2:3], v[28:29]
	s_wait_loadcnt 0x0
	v_add_f64_e64 v[30:31], v[30:31], -v[10:11]
	s_delay_alu instid0(VALU_DEP_3) | instskip(SKIP_1) | instid1(TRANS32_DEP_1)
	v_rcp_f64_e32 v[34:35], v[32:33]
	v_nop
	v_fma_f64 v[36:37], -v[32:33], v[34:35], 1.0
	s_delay_alu instid0(VALU_DEP_1) | instskip(NEXT) | instid1(VALU_DEP_1)
	v_fmac_f64_e32 v[34:35], v[34:35], v[36:37]
	v_fma_f64 v[36:37], -v[32:33], v[34:35], 1.0
	s_delay_alu instid0(VALU_DEP_1) | instskip(NEXT) | instid1(VALU_DEP_1)
	v_fmac_f64_e32 v[34:35], v[34:35], v[36:37]
	v_mul_f64_e32 v[36:37], v[38:39], v[34:35]
	s_delay_alu instid0(VALU_DEP_1) | instskip(NEXT) | instid1(VALU_DEP_1)
	v_fma_f64 v[32:33], -v[32:33], v[36:37], v[38:39]
	v_div_fmas_f64 v[32:33], v[32:33], v[34:35], v[36:37]
	s_delay_alu instid0(VALU_DEP_1) | instskip(NEXT) | instid1(VALU_DEP_1)
	v_div_fixup_f64 v[2:3], v[32:33], v[2:3], v[28:29]
	v_add_f64_e64 v[2:3], v[30:31], -v[2:3]
	s_delay_alu instid0(VALU_DEP_1)
	v_cmp_ge_f64_e32 vcc_lo, s[30:31], v[2:3]
	v_cmp_gt_f64_e64 s77, v[2:3], -s[30:31]
	v_add_co_ci_u32_e64 v12, null, 0, v12, vcc_lo
	s_and_b32 s77, vcc_lo, s77
	s_cmp_lg_u32 s76, 0
	v_cndmask_b32_e64 v3, v3, s75, s77
	v_cndmask_b32_e64 v2, v2, s30, s77
	s_cbranch_scc1 .LBB17_40
.LBB17_41:                              ;   in Loop: Header=BB17_37 Depth=3
	s_wait_loadcnt 0x0
	s_delay_alu instid0(VALU_DEP_1) | instskip(SKIP_1) | instid1(VALU_DEP_1)
	v_max_i32_e32 v2, v12, v4
	s_mov_b32 s6, exec_lo
	v_min_i32_e32 v3, v2, v5
	s_delay_alu instid0(VALU_DEP_1)
	v_cmpx_ne_u32_e64 v3, v4
	s_xor_b32 s6, exec_lo, s6
	s_cbranch_execz .LBB17_47
; %bb.42:                               ;   in Loop: Header=BB17_37 Depth=3
	s_mov_b32 s7, exec_lo
	v_cmpx_le_i32_e64 v5, v2
	s_xor_b32 s7, exec_lo, s7
	s_cbranch_execz .LBB17_44
; %bb.43:                               ;   in Loop: Header=BB17_37 Depth=3
	v_dual_mov_b32 v8, v10 :: v_dual_mov_b32 v9, v11
	v_mov_b32_e32 v2, v4
                                        ; implicit-def: $vgpr10_vgpr11
	ds_store_b32 v1, v25
	ds_store_b128 v22, v[6:9]
	ds_store_b64 v23, v[2:3]
                                        ; implicit-def: $vgpr6_vgpr7
.LBB17_44:                              ;   in Loop: Header=BB17_37 Depth=3
	s_and_not1_saveexec_b32 s7, s7
	s_cbranch_execz .LBB17_46
; %bb.45:                               ;   in Loop: Header=BB17_37 Depth=3
	v_dual_mov_b32 v28, v6 :: v_dual_mov_b32 v29, v7
	v_dual_mov_b32 v30, v10 :: v_dual_mov_b32 v31, v11
	;; [unrolled: 1-line block ×4, first 2 shown]
	ds_store_b32 v1, v26
	ds_store_b128 v22, v[28:31]
	ds_store_b128 v22, v[10:13] offset:16
	ds_store_b128 v23, v[2:5]
.LBB17_46:                              ;   in Loop: Header=BB17_37 Depth=3
	s_or_b32 exec_lo, exec_lo, s7
                                        ; implicit-def: $vgpr10_vgpr11
                                        ; implicit-def: $vgpr8_vgpr9
.LBB17_47:                              ;   in Loop: Header=BB17_37 Depth=3
	s_and_not1_saveexec_b32 s6, s6
	s_cbranch_execz .LBB17_49
; %bb.48:                               ;   in Loop: Header=BB17_37 Depth=3
	v_dual_mov_b32 v12, v8 :: v_dual_mov_b32 v13, v9
	ds_store_b32 v1, v25
	ds_store_b128 v22, v[10:13]
	ds_store_b64 v23, v[4:5]
.LBB17_49:                              ;   in Loop: Header=BB17_37 Depth=3
	s_or_b32 exec_lo, exec_lo, s6
.LBB17_50:                              ;   in Loop: Header=BB17_37 Depth=3
	s_delay_alu instid0(SALU_CYCLE_1)
	s_or_b32 exec_lo, exec_lo, s74
	s_wait_dscnt 0x0
	s_barrier_signal -1
	s_barrier_wait -1
	s_and_saveexec_b32 s6, s5
	s_cbranch_execz .LBB17_64
; %bb.51:                               ;   in Loop: Header=BB17_37 Depth=3
	v_mov_b32_e32 v5, 0
	s_and_saveexec_b32 s5, s1
	s_cbranch_execz .LBB17_61
; %bb.52:                               ;   in Loop: Header=BB17_37 Depth=3
	v_dual_mov_b32 v5, 0 :: v_dual_mov_b32 v3, 0
	s_mov_b32 s60, -1
	s_and_saveexec_b32 s7, s2
	s_cbranch_execz .LBB17_56
; %bb.53:                               ;   in Loop: Header=BB17_37 Depth=3
	v_dual_mov_b32 v3, 0 :: v_dual_mov_b32 v2, 0
	v_dual_mov_b32 v5, 0 :: v_dual_mov_b32 v4, 0
	v_mov_b32_e32 v6, v24
	s_movk_i32 s61, 0x1800
	s_mov_b32 s60, 0
.LBB17_54:                              ;   Parent Loop BB17_4 Depth=1
                                        ;     Parent Loop BB17_32 Depth=2
                                        ;       Parent Loop BB17_37 Depth=3
                                        ; =>      This Inner Loop Header: Depth=4
	s_delay_alu instid0(VALU_DEP_1)
	v_dual_mov_b32 v7, s61 :: v_dual_add_nc_u32 v6, -4, v6
	s_add_co_i32 s61, s61, 16
	ds_load_b128 v[8:11], v7
	v_cmp_eq_u32_e32 vcc_lo, 0, v6
	s_or_b32 s60, vcc_lo, s60
	s_wait_dscnt 0x0
	v_dual_add_nc_u32 v3, v9, v3 :: v_dual_add_nc_u32 v2, v8, v2
	v_dual_add_nc_u32 v5, v11, v5 :: v_dual_add_nc_u32 v4, v10, v4
	s_and_not1_b32 exec_lo, exec_lo, s60
	s_cbranch_execnz .LBB17_54
; %bb.55:                               ;   in Loop: Header=BB17_37 Depth=3
	s_or_b32 exec_lo, exec_lo, s60
	s_delay_alu instid0(VALU_DEP_1) | instskip(SKIP_1) | instid1(VALU_DEP_1)
	v_add_nc_u32_e32 v3, v5, v3
	s_or_not1_b32 s60, s3, exec_lo
	v_add3_u32 v5, v4, v2, v3
	v_mov_b32_e32 v3, v24
.LBB17_56:                              ;   in Loop: Header=BB17_37 Depth=3
	s_or_b32 exec_lo, exec_lo, s7
	s_and_saveexec_b32 s7, s60
	s_cbranch_execz .LBB17_60
; %bb.57:                               ;   in Loop: Header=BB17_37 Depth=3
	s_delay_alu instid0(VALU_DEP_1)
	v_sub_nc_u32_e32 v2, v0, v3
	v_lshl_or_b32 v3, v3, 2, 0x1800
	s_mov_b32 s60, 0
.LBB17_58:                              ;   Parent Loop BB17_4 Depth=1
                                        ;     Parent Loop BB17_32 Depth=2
                                        ;       Parent Loop BB17_37 Depth=3
                                        ; =>      This Inner Loop Header: Depth=4
	ds_load_b32 v4, v3
	v_dual_add_nc_u32 v2, -1, v2 :: v_dual_add_nc_u32 v3, 4, v3
	s_delay_alu instid0(VALU_DEP_1)
	v_cmp_eq_u32_e32 vcc_lo, 0, v2
	s_or_b32 s60, vcc_lo, s60
	s_wait_dscnt 0x0
	v_add_nc_u32_e32 v5, v4, v5
	s_and_not1_b32 exec_lo, exec_lo, s60
	s_cbranch_execnz .LBB17_58
; %bb.59:                               ;   in Loop: Header=BB17_37 Depth=3
	s_or_b32 exec_lo, exec_lo, s60
.LBB17_60:                              ;   in Loop: Header=BB17_37 Depth=3
	s_delay_alu instid0(SALU_CYCLE_1)
	s_or_b32 exec_lo, exec_lo, s7
.LBB17_61:                              ;   in Loop: Header=BB17_37 Depth=3
	s_delay_alu instid0(SALU_CYCLE_1)
	s_or_b32 exec_lo, exec_lo, s5
	ds_load_b32 v2, v25 offset:6656
	ds_load_b32 v4, v1
	ds_load_b128 v[8:11], v22
	ds_load_b64 v[12:13], v23
	s_mov_b32 s5, exec_lo
	s_wait_dscnt 0x3
	v_add3_u32 v2, v5, v0, v2
	s_delay_alu instid0(VALU_DEP_1) | instskip(NEXT) | instid1(VALU_DEP_1)
	v_lshl_add_u32 v6, v2, 1, s63
	v_ashrrev_i32_e32 v7, 31, v6
	s_delay_alu instid0(VALU_DEP_1)
	v_lshl_add_u64 v[2:3], v[6:7], 3, s[36:37]
	v_lshl_add_u64 v[6:7], v[6:7], 2, s[38:39]
	s_wait_dscnt 0x1
	global_store_b128 v[2:3], v[8:11], off
	s_wait_dscnt 0x0
	global_store_b64 v[6:7], v[12:13], off
	s_wait_xcnt 0x0
	v_cmpx_ne_u32_e32 0, v4
	s_cbranch_execz .LBB17_63
; %bb.62:                               ;   in Loop: Header=BB17_37 Depth=3
	ds_load_b128 v[8:11], v22 offset:16
	ds_load_b64 v[12:13], v23 offset:8
	s_wait_dscnt 0x1
	global_store_b128 v[2:3], v[8:11], off offset:16
	s_wait_dscnt 0x0
	global_store_b64 v[6:7], v[12:13], off offset:8
.LBB17_63:                              ;   in Loop: Header=BB17_37 Depth=3
	s_wait_xcnt 0x0
	s_or_b32 exec_lo, exec_lo, s5
.LBB17_64:                              ;   in Loop: Header=BB17_37 Depth=3
	s_delay_alu instid0(SALU_CYCLE_1)
	s_or_b32 exec_lo, exec_lo, s6
	s_sub_co_i32 s5, s62, s73
	s_wait_storecnt 0x0
	s_min_i32 s5, s5, 0x80
	s_barrier_signal -1
	s_add_co_i32 s6, s5, -1
	s_barrier_wait -1
	v_cmp_eq_u32_e32 vcc_lo, s6, v0
	s_and_saveexec_b32 s6, vcc_lo
	s_cbranch_execz .LBB17_36
; %bb.65:                               ;   in Loop: Header=BB17_37 Depth=3
	ds_load_b32 v2, v1
	ds_load_b32 v3, v25 offset:6656
	v_add_nc_u32_e32 v4, s5, v5
	s_wait_dscnt 0x0
	s_delay_alu instid0(VALU_DEP_1)
	v_add3_u32 v2, v4, v2, v3
	ds_store_b32 v25, v2 offset:6656
	s_branch .LBB17_36
.LBB17_66:                              ;   in Loop: Header=BB17_32 Depth=2
	ds_load_b32 v2, v25 offset:6656
	s_wait_dscnt 0x0
	v_readfirstlane_b32 s62, v2
	s_and_saveexec_b32 s5, s0
	s_cbranch_execz .LBB17_31
; %bb.67:                               ;   in Loop: Header=BB17_32 Depth=2
	ds_load_b128 v[6:9], v25
	s_wait_dscnt 0x0
	v_cmp_lt_f64_e64 vcc_lo, |v[6:7]|, |v[8:9]|
	v_dual_cndmask_b32 v3, v7, v9 :: v_dual_cndmask_b32 v2, v6, v8
	v_add_f64_e64 v[6:7], v[8:9], -v[6:7]
	s_delay_alu instid0(VALU_DEP_2) | instskip(NEXT) | instid1(VALU_DEP_1)
	v_mul_f64_e64 v[2:3], v[16:17], |v[2:3]|
	v_cmp_lt_f64_e32 vcc_lo, v[20:21], v[2:3]
	v_dual_cndmask_b32 v3, v21, v3 :: v_dual_cndmask_b32 v2, v20, v2
	s_delay_alu instid0(VALU_DEP_1)
	v_cmp_nlt_f64_e32 vcc_lo, v[6:7], v[2:3]
	s_cbranch_vccnz .LBB17_31
; %bb.68:                               ;   in Loop: Header=BB17_32 Depth=2
	ds_store_b8 v25, v26 offset:6661
	s_branch .LBB17_31
.LBB17_69:                              ;   in Loop: Header=BB17_4 Depth=1
                                        ; implicit-def: $sgpr49
                                        ; implicit-def: $sgpr63
                                        ; implicit-def: $sgpr29
                                        ; implicit-def: $sgpr62
                                        ; implicit-def: $vgpr5
	s_cbranch_execz .LBB17_3
	s_branch .LBB17_83
.LBB17_70:                              ;   in Loop: Header=BB17_4 Depth=1
	s_mov_b32 s63, s65
.LBB17_71:                              ;   in Loop: Header=BB17_4 Depth=1
	s_and_b32 s6, s0, s60
	s_delay_alu instid0(SALU_CYCLE_1)
	s_and_saveexec_b32 s56, s6
	s_cbranch_execz .LBB17_82
; %bb.72:                               ;   in Loop: Header=BB17_4 Depth=1
	s_cmp_lt_i32 s62, 1
	s_cbranch_scc1 .LBB17_80
; %bb.73:                               ;   in Loop: Header=BB17_4 Depth=1
	s_add_co_i32 s6, s28, 1
	s_not_b32 s7, s28
	s_and_b32 s54, s5, exec_lo
	s_cselect_b32 s57, s6, s7
	s_mov_b32 s58, 0
	s_mov_b32 s59, 0
	s_branch .LBB17_75
.LBB17_74:                              ;   in Loop: Header=BB17_75 Depth=2
	s_add_co_i32 s58, s58, 1
	s_delay_alu instid0(SALU_CYCLE_1)
	s_cmp_eq_u32 s58, s62
	s_cbranch_scc1 .LBB17_79
.LBB17_75:                              ;   Parent Loop BB17_4 Depth=1
                                        ; =>  This Loop Header: Depth=2
                                        ;       Child Loop BB17_77 Depth 3
	s_lshl_b32 s6, s58, 1
	s_delay_alu instid0(SALU_CYCLE_1) | instskip(NEXT) | instid1(SALU_CYCLE_1)
	s_add_co_i32 s6, s6, s63
	s_ashr_i32 s7, s6, 31
	s_delay_alu instid0(SALU_CYCLE_1) | instskip(NEXT) | instid1(SALU_CYCLE_1)
	s_lshl_b64 s[54:55], s[6:7], 2
	s_add_nc_u64 s[54:55], s[38:39], s[54:55]
	global_load_b64 v[2:3], v25, s[54:55]
	s_wait_loadcnt 0x0
	s_wait_xcnt 0x0
	v_readfirstlane_b32 s54, v2
	v_readfirstlane_b32 s60, v3
	s_sub_co_i32 s61, s60, s54
	s_delay_alu instid0(SALU_CYCLE_1)
	s_cmp_lt_i32 s61, 1
	s_cbranch_scc1 .LBB17_74
; %bb.76:                               ;   in Loop: Header=BB17_75 Depth=2
	s_lshl_b64 s[6:7], s[6:7], 3
	s_delay_alu instid0(SALU_CYCLE_1) | instskip(SKIP_3) | instid1(SALU_CYCLE_1)
	s_add_nc_u64 s[6:7], s[36:37], s[6:7]
	global_load_b128 v[2:5], v25, s[6:7]
	s_wait_xcnt 0x0
	s_add_co_i32 s6, s48, s59
	s_ashr_i32 s7, s6, 31
	s_delay_alu instid0(SALU_CYCLE_1)
	s_lshl_b64 s[54:55], s[6:7], 3
	s_lshl_b64 s[68:69], s[6:7], 2
	s_add_nc_u64 s[6:7], s[12:13], s[54:55]
	s_add_nc_u64 s[54:55], s[10:11], s[68:69]
	s_mov_b32 s68, 0
	s_wait_loadcnt 0x0
	v_add_f64_e32 v[2:3], v[2:3], v[4:5]
	s_delay_alu instid0(VALU_DEP_1)
	v_mul_f64_e32 v[2:3], 0.5, v[2:3]
.LBB17_77:                              ;   Parent Loop BB17_4 Depth=1
                                        ;     Parent Loop BB17_75 Depth=2
                                        ; =>    This Inner Loop Header: Depth=3
	v_mov_b32_e32 v4, s57
	s_add_co_i32 s68, s68, 1
	global_store_b64 v25, v[2:3], s[6:7]
	s_wait_xcnt 0x0
	s_add_nc_u64 s[6:7], s[6:7], 8
	s_cmp_ge_i32 s68, s61
	global_store_b32 v25, v4, s[54:55]
	s_wait_xcnt 0x0
	s_add_nc_u64 s[54:55], s[54:55], 4
	s_cbranch_scc0 .LBB17_77
; %bb.78:                               ;   in Loop: Header=BB17_75 Depth=2
	s_add_co_i32 s59, s59, s68
	s_branch .LBB17_74
.LBB17_79:                              ;   in Loop: Header=BB17_4 Depth=1
	v_mov_b32_e32 v5, s60
.LBB17_80:                              ;   in Loop: Header=BB17_4 Depth=1
	s_xor_b32 s5, s5, -1
	s_delay_alu instid0(SALU_CYCLE_1)
	s_and_b32 vcc_lo, exec_lo, s5
	s_cbranch_vccz .LBB17_82
; %bb.81:                               ;   in Loop: Header=BB17_4 Depth=1
	global_store_b32 v25, v26, s[8:9]
.LBB17_82:                              ;   in Loop: Header=BB17_4 Depth=1
	s_wait_xcnt 0x0
	s_or_b32 exec_lo, exec_lo, s56
	s_branch .LBB17_3
.LBB17_83:                              ;   in Loop: Header=BB17_4 Depth=1
	s_and_saveexec_b32 s5, s0
	s_cbranch_execz .LBB17_2
; %bb.84:                               ;   in Loop: Header=BB17_4 Depth=1
	v_mov_b32_e32 v2, s48
	s_and_not1_b32 vcc_lo, exec_lo, s52
	s_mov_b32 s6, -1
	global_load_b64 v[2:3], v2, s[24:25] scale_offset
	s_cbranch_vccnz .LBB17_89
; %bb.85:                               ;   in Loop: Header=BB17_4 Depth=1
	global_load_b64 v[6:7], v25, s[16:17]
	s_wait_loadcnt 0x1
	v_add_f64_e64 v[4:5], v[2:3], -s[30:31]
	s_mov_b32 s6, 0
	s_wait_loadcnt 0x0
	s_delay_alu instid0(VALU_DEP_1)
	v_cmp_lt_f64_e32 vcc_lo, v[6:7], v[4:5]
	v_cmp_nlt_f64_e64 s7, v[6:7], v[4:5]
	s_cbranch_vccz .LBB17_87
; %bb.86:                               ;   in Loop: Header=BB17_4 Depth=1
	global_load_b64 v[6:7], v25, s[16:17] offset:8
	s_mov_b32 s6, -1
	s_wait_loadcnt 0x0
	v_cmp_nge_f64_e64 s7, v[6:7], v[4:5]
.LBB17_87:                              ;   in Loop: Header=BB17_4 Depth=1
	s_delay_alu instid0(VALU_DEP_1)
	s_and_not1_b32 vcc_lo, exec_lo, s7
	s_cbranch_vccnz .LBB17_89
; %bb.88:                               ;   in Loop: Header=BB17_4 Depth=1
	s_add_nc_u64 s[54:55], s[18:19], s[50:51]
	s_mov_b32 s6, 0
	global_store_b32 v25, v25, s[54:55]
.LBB17_89:                              ;   in Loop: Header=BB17_4 Depth=1
	s_and_b32 vcc_lo, exec_lo, s6
	s_cbranch_vccz .LBB17_2
; %bb.90:                               ;   in Loop: Header=BB17_4 Depth=1
	s_ashr_i32 s49, s48, 31
	s_add_co_i32 s29, s28, 1
	s_lshl_b64 s[6:7], s[48:49], 3
	v_mov_b32_e32 v4, s29
	s_lshl_b64 s[48:49], s[48:49], 2
	s_add_nc_u64 s[6:7], s[12:13], s[6:7]
	s_add_nc_u64 s[50:51], s[18:19], s[50:51]
	;; [unrolled: 1-line block ×3, first 2 shown]
	s_wait_loadcnt 0x0
	s_clause 0x2
	global_store_b64 v25, v[2:3], s[6:7]
	global_store_b32 v25, v26, s[50:51]
	global_store_b32 v25, v4, s[48:49]
	s_branch .LBB17_2
.LBB17_91:
	s_endpgm
	.section	.rodata,"a",@progbits
	.p2align	6, 0x0
	.amdhsa_kernel _ZN9rocsolver6v33100L22stebz_bisection_kernelIdPdEEv15rocblas_erange_iT_T0_iiS5_iiPiPS4_lS6_lS6_lS6_S6_S7_S7_S7_S7_S6_S4_S4_
		.amdhsa_group_segment_fixed_size 6664
		.amdhsa_private_segment_fixed_size 0
		.amdhsa_kernarg_size 176
		.amdhsa_user_sgpr_count 2
		.amdhsa_user_sgpr_dispatch_ptr 0
		.amdhsa_user_sgpr_queue_ptr 0
		.amdhsa_user_sgpr_kernarg_segment_ptr 1
		.amdhsa_user_sgpr_dispatch_id 0
		.amdhsa_user_sgpr_kernarg_preload_length 0
		.amdhsa_user_sgpr_kernarg_preload_offset 0
		.amdhsa_user_sgpr_private_segment_size 0
		.amdhsa_wavefront_size32 1
		.amdhsa_uses_dynamic_stack 0
		.amdhsa_enable_private_segment 0
		.amdhsa_system_sgpr_workgroup_id_x 1
		.amdhsa_system_sgpr_workgroup_id_y 1
		.amdhsa_system_sgpr_workgroup_id_z 0
		.amdhsa_system_sgpr_workgroup_info 0
		.amdhsa_system_vgpr_workitem_id 0
		.amdhsa_next_free_vgpr 42
		.amdhsa_next_free_sgpr 78
		.amdhsa_named_barrier_count 0
		.amdhsa_reserve_vcc 1
		.amdhsa_float_round_mode_32 0
		.amdhsa_float_round_mode_16_64 0
		.amdhsa_float_denorm_mode_32 3
		.amdhsa_float_denorm_mode_16_64 3
		.amdhsa_fp16_overflow 0
		.amdhsa_memory_ordered 1
		.amdhsa_forward_progress 1
		.amdhsa_inst_pref_size 45
		.amdhsa_round_robin_scheduling 0
		.amdhsa_exception_fp_ieee_invalid_op 0
		.amdhsa_exception_fp_denorm_src 0
		.amdhsa_exception_fp_ieee_div_zero 0
		.amdhsa_exception_fp_ieee_overflow 0
		.amdhsa_exception_fp_ieee_underflow 0
		.amdhsa_exception_fp_ieee_inexact 0
		.amdhsa_exception_int_div_zero 0
	.end_amdhsa_kernel
	.section	.text._ZN9rocsolver6v33100L22stebz_bisection_kernelIdPdEEv15rocblas_erange_iT_T0_iiS5_iiPiPS4_lS6_lS6_lS6_S6_S7_S7_S7_S7_S6_S4_S4_,"axG",@progbits,_ZN9rocsolver6v33100L22stebz_bisection_kernelIdPdEEv15rocblas_erange_iT_T0_iiS5_iiPiPS4_lS6_lS6_lS6_S6_S7_S7_S7_S7_S6_S4_S4_,comdat
.Lfunc_end17:
	.size	_ZN9rocsolver6v33100L22stebz_bisection_kernelIdPdEEv15rocblas_erange_iT_T0_iiS5_iiPiPS4_lS6_lS6_lS6_S6_S7_S7_S7_S7_S6_S4_S4_, .Lfunc_end17-_ZN9rocsolver6v33100L22stebz_bisection_kernelIdPdEEv15rocblas_erange_iT_T0_iiS5_iiPiPS4_lS6_lS6_lS6_S6_S7_S7_S7_S7_S6_S4_S4_
                                        ; -- End function
	.set _ZN9rocsolver6v33100L22stebz_bisection_kernelIdPdEEv15rocblas_erange_iT_T0_iiS5_iiPiPS4_lS6_lS6_lS6_S6_S7_S7_S7_S7_S6_S4_S4_.num_vgpr, 42
	.set _ZN9rocsolver6v33100L22stebz_bisection_kernelIdPdEEv15rocblas_erange_iT_T0_iiS5_iiPiPS4_lS6_lS6_lS6_S6_S7_S7_S7_S7_S6_S4_S4_.num_agpr, 0
	.set _ZN9rocsolver6v33100L22stebz_bisection_kernelIdPdEEv15rocblas_erange_iT_T0_iiS5_iiPiPS4_lS6_lS6_lS6_S6_S7_S7_S7_S7_S6_S4_S4_.numbered_sgpr, 78
	.set _ZN9rocsolver6v33100L22stebz_bisection_kernelIdPdEEv15rocblas_erange_iT_T0_iiS5_iiPiPS4_lS6_lS6_lS6_S6_S7_S7_S7_S7_S6_S4_S4_.num_named_barrier, 0
	.set _ZN9rocsolver6v33100L22stebz_bisection_kernelIdPdEEv15rocblas_erange_iT_T0_iiS5_iiPiPS4_lS6_lS6_lS6_S6_S7_S7_S7_S7_S6_S4_S4_.private_seg_size, 0
	.set _ZN9rocsolver6v33100L22stebz_bisection_kernelIdPdEEv15rocblas_erange_iT_T0_iiS5_iiPiPS4_lS6_lS6_lS6_S6_S7_S7_S7_S7_S6_S4_S4_.uses_vcc, 1
	.set _ZN9rocsolver6v33100L22stebz_bisection_kernelIdPdEEv15rocblas_erange_iT_T0_iiS5_iiPiPS4_lS6_lS6_lS6_S6_S7_S7_S7_S7_S6_S4_S4_.uses_flat_scratch, 0
	.set _ZN9rocsolver6v33100L22stebz_bisection_kernelIdPdEEv15rocblas_erange_iT_T0_iiS5_iiPiPS4_lS6_lS6_lS6_S6_S7_S7_S7_S7_S6_S4_S4_.has_dyn_sized_stack, 0
	.set _ZN9rocsolver6v33100L22stebz_bisection_kernelIdPdEEv15rocblas_erange_iT_T0_iiS5_iiPiPS4_lS6_lS6_lS6_S6_S7_S7_S7_S7_S6_S4_S4_.has_recursion, 0
	.set _ZN9rocsolver6v33100L22stebz_bisection_kernelIdPdEEv15rocblas_erange_iT_T0_iiS5_iiPiPS4_lS6_lS6_lS6_S6_S7_S7_S7_S7_S6_S4_S4_.has_indirect_call, 0
	.section	.AMDGPU.csdata,"",@progbits
; Kernel info:
; codeLenInByte = 5760
; TotalNumSgprs: 80
; NumVgprs: 42
; ScratchSize: 0
; MemoryBound: 0
; FloatMode: 240
; IeeeMode: 1
; LDSByteSize: 6664 bytes/workgroup (compile time only)
; SGPRBlocks: 0
; VGPRBlocks: 2
; NumSGPRsForWavesPerEU: 80
; NumVGPRsForWavesPerEU: 42
; NamedBarCnt: 0
; Occupancy: 16
; WaveLimiterHint : 1
; COMPUTE_PGM_RSRC2:SCRATCH_EN: 0
; COMPUTE_PGM_RSRC2:USER_SGPR: 2
; COMPUTE_PGM_RSRC2:TRAP_HANDLER: 0
; COMPUTE_PGM_RSRC2:TGID_X_EN: 1
; COMPUTE_PGM_RSRC2:TGID_Y_EN: 1
; COMPUTE_PGM_RSRC2:TGID_Z_EN: 0
; COMPUTE_PGM_RSRC2:TIDIG_COMP_CNT: 0
	.section	.text._ZN9rocsolver6v33100L22stebz_synthesis_kernelIdPdEEv15rocblas_erange_15rocblas_eorder_iiiT0_iiPiS6_PT_lS6_lS6_liS6_S8_S8_S8_S8_S6_S7_,"axG",@progbits,_ZN9rocsolver6v33100L22stebz_synthesis_kernelIdPdEEv15rocblas_erange_15rocblas_eorder_iiiT0_iiPiS6_PT_lS6_lS6_liS6_S8_S8_S8_S8_S6_S7_,comdat
	.globl	_ZN9rocsolver6v33100L22stebz_synthesis_kernelIdPdEEv15rocblas_erange_15rocblas_eorder_iiiT0_iiPiS6_PT_lS6_lS6_liS6_S8_S8_S8_S8_S6_S7_ ; -- Begin function _ZN9rocsolver6v33100L22stebz_synthesis_kernelIdPdEEv15rocblas_erange_15rocblas_eorder_iiiT0_iiPiS6_PT_lS6_lS6_liS6_S8_S8_S8_S8_S6_S7_
	.p2align	8
	.type	_ZN9rocsolver6v33100L22stebz_synthesis_kernelIdPdEEv15rocblas_erange_15rocblas_eorder_iiiT0_iiPiS6_PT_lS6_lS6_liS6_S8_S8_S8_S8_S6_S7_,@function
_ZN9rocsolver6v33100L22stebz_synthesis_kernelIdPdEEv15rocblas_erange_15rocblas_eorder_iiiT0_iiPiS6_PT_lS6_lS6_liS6_S8_S8_S8_S8_S6_S7_: ; @_ZN9rocsolver6v33100L22stebz_synthesis_kernelIdPdEEv15rocblas_erange_15rocblas_eorder_iiiT0_iiPiS6_PT_lS6_lS6_liS6_S8_S8_S8_S8_S6_S7_
; %bb.0:
	s_clause 0x1
	s_load_b32 s2, s[0:1], 0xb4
	s_load_b32 s3, s[0:1], 0x68
	s_bfe_u32 s4, ttmp6, 0x4000c
	s_and_b32 s5, ttmp6, 15
	s_add_co_i32 s4, s4, 1
	s_getreg_b32 s6, hwreg(HW_REG_IB_STS2, 6, 4)
	s_mul_i32 s4, ttmp9, s4
	s_delay_alu instid0(SALU_CYCLE_1) | instskip(SKIP_4) | instid1(SALU_CYCLE_1)
	s_add_co_i32 s5, s5, s4
	s_wait_kmcnt 0x0
	s_and_b32 s2, s2, 0xffff
	s_cmp_eq_u32 s6, 0
	s_cselect_b32 s4, ttmp9, s5
	v_mad_u32 v0, s4, s2, v0
	s_mov_b32 s2, exec_lo
	s_delay_alu instid0(VALU_DEP_1)
	v_cmpx_gt_i32_e64 s3, v0
	s_cbranch_execz .LBB18_61
; %bb.1:
	s_load_b512 s[4:19], s[0:1], 0x28
	v_ashrrev_i32_e32 v1, 31, v0
	s_load_b128 s[28:31], s[0:1], 0x0
	s_wait_kmcnt 0x0
	global_load_b32 v32, v0, s[6:7] scale_offset
	v_mul_u64_e32 v[6:7], s[18:19], v[0:1]
	v_mul_u64_e32 v[2:3], s[10:11], v[0:1]
	;; [unrolled: 1-line block ×3, first 2 shown]
	s_clause 0x1
	s_load_b256 s[20:27], s[0:1], 0x70
	s_load_b32 s18, s[0:1], 0x10
	v_mul_lo_u32 v8, v0, s30
	s_cmp_eq_u32 s28, 0xe9
	s_delay_alu instid0(VALU_DEP_1) | instskip(SKIP_1) | instid1(VALU_DEP_1)
	v_ashrrev_i32_e32 v9, 31, v8
	s_wait_kmcnt 0x0
	v_lshl_add_u64 v[16:17], v[8:9], 2, s[20:21]
	v_lshl_add_u64 v[20:21], v[6:7], 2, s[16:17]
	s_wait_loadcnt 0x0
	v_cmp_gt_i32_e64 s2, 1, v32
	v_cmp_lt_i32_e32 vcc_lo, 0, v32
	s_cbranch_scc1 .LBB18_12
; %bb.2:
	v_mov_b32_e32 v14, 0
	s_and_saveexec_b32 s3, vcc_lo
	s_cbranch_execz .LBB18_14
; %bb.3:
	v_lshl_add_u64 v[6:7], v[2:3], 3, s[8:9]
	v_lshl_add_u64 v[8:9], v[4:5], 2, s[12:13]
	v_mov_b32_e32 v14, 0
	s_mov_b32 s7, 0
	s_mov_b32 s14, 0
	;; [unrolled: 1-line block ×3, first 2 shown]
	s_branch .LBB18_5
.LBB18_4:                               ;   in Loop: Header=BB18_5 Depth=1
	s_or_b32 exec_lo, exec_lo, s10
	s_add_co_i32 s6, s6, 1
	s_delay_alu instid0(SALU_CYCLE_1) | instskip(SKIP_1) | instid1(SALU_CYCLE_1)
	v_cmp_eq_u32_e32 vcc_lo, s6, v32
	s_or_b32 s14, vcc_lo, s14
	s_and_not1_b32 exec_lo, exec_lo, s14
	s_cbranch_execz .LBB18_13
.LBB18_5:                               ; =>This Loop Header: Depth=1
                                        ;     Child Loop BB18_10 Depth 2
	s_cmp_eq_u32 s6, 0
	s_cbranch_scc1 .LBB18_7
; %bb.6:                                ;   in Loop: Header=BB18_5 Depth=1
	v_lshl_add_u64 v[10:11], s[6:7], 2, v[20:21]
	s_mov_b64 s[10:11], s[6:7]
	global_load_b32 v18, v[10:11], off offset:-4
	s_branch .LBB18_8
.LBB18_7:                               ;   in Loop: Header=BB18_5 Depth=1
	v_mov_b32_e32 v18, 0
	s_mov_b64 s[10:11], 0
.LBB18_8:                               ;   in Loop: Header=BB18_5 Depth=1
	s_wait_xcnt 0x0
	v_lshl_add_u64 v[10:11], s[10:11], 2, v[16:17]
	s_mov_b32 s10, exec_lo
	global_load_b32 v12, v[10:11], off
	s_wait_loadcnt 0x0
	s_wait_xcnt 0x0
	v_cmpx_lt_i32_e32 0, v12
	s_cbranch_execz .LBB18_4
; %bb.9:                                ;   in Loop: Header=BB18_5 Depth=1
	v_ashrrev_i32_e32 v19, 31, v18
	v_ashrrev_i32_e32 v15, 31, v14
	s_mov_b32 s11, 0
	s_mov_b32 s15, 0
	s_delay_alu instid0(VALU_DEP_2)
	v_lshl_add_u64 v[12:13], v[18:19], 3, v[6:7]
	v_lshl_add_u64 v[18:19], v[18:19], 2, v[8:9]
	;; [unrolled: 1-line block ×4, first 2 shown]
.LBB18_10:                              ;   Parent Loop BB18_5 Depth=1
                                        ; =>  This Inner Loop Header: Depth=2
	global_load_b32 v15, v[18:19], off
	s_add_co_i32 s15, s15, 1
	s_wait_xcnt 0x0
	v_add_nc_u64_e32 v[18:19], 4, v[18:19]
	s_wait_loadcnt 0x0
	global_store_b32 v[24:25], v15, off
	global_load_b32 v15, v[10:11], off
	global_load_b64 v[26:27], v[12:13], off
	s_wait_xcnt 0x0
	v_add_nc_u64_e32 v[12:13], 8, v[12:13]
	v_add_nc_u64_e32 v[24:25], 4, v[24:25]
	s_wait_loadcnt 0x1
	v_cmp_ge_i32_e32 vcc_lo, s15, v15
	s_wait_loadcnt 0x0
	global_store_b64 v[22:23], v[26:27], off
	s_wait_xcnt 0x0
	v_add_nc_u64_e32 v[22:23], 8, v[22:23]
	v_add_nc_u32_e32 v15, s15, v14
	s_or_b32 s11, vcc_lo, s11
	s_delay_alu instid0(SALU_CYCLE_1)
	s_and_not1_b32 exec_lo, exec_lo, s11
	s_cbranch_execnz .LBB18_10
; %bb.11:                               ;   in Loop: Header=BB18_5 Depth=1
	s_or_b32 exec_lo, exec_lo, s11
	v_mov_b32_e32 v14, v15
	s_branch .LBB18_4
.LBB18_12:
                                        ; implicit-def: $vgpr14
	v_lshl_add_u64 v[2:3], v[2:3], 3, s[8:9]
	v_lshl_add_u64 v[4:5], v[4:5], 2, s[12:13]
	s_branch .LBB18_15
.LBB18_13:
	s_or_b32 exec_lo, exec_lo, s14
.LBB18_14:
	s_delay_alu instid0(SALU_CYCLE_1)
	s_or_b32 exec_lo, exec_lo, s3
	v_lshl_add_u64 v[2:3], v[2:3], 3, s[8:9]
	v_lshl_add_u64 v[4:5], v[4:5], 2, s[12:13]
	s_cbranch_execnz .LBB18_53
.LBB18_15:
	v_lshl_add_u64 v[6:7], v[0:1], 3, s[22:23]
	v_lshlrev_b32_e32 v18, 1, v0
	s_load_b128 s[8:11], s[0:1], 0x90
                                        ; implicit-def: $sgpr6_sgpr7
	global_load_b64 v[6:7], v[6:7], off
	v_mul_lo_u32 v14, v18, s30
	s_delay_alu instid0(VALU_DEP_1) | instskip(SKIP_2) | instid1(SALU_CYCLE_1)
	v_ashrrev_i32_e32 v15, 31, v14
	s_wait_xcnt 0x0
	s_and_saveexec_b32 s3, s2
	s_xor_b32 s2, exec_lo, s3
; %bb.16:
	s_ashr_i32 s7, s30, 31
	s_mov_b32 s6, s30
                                        ; implicit-def: $vgpr32
                                        ; implicit-def: $vgpr16_vgpr17
                                        ; implicit-def: $vgpr20_vgpr21
; %bb.17:
	s_or_saveexec_b32 s19, s2
	v_mov_b64_e32 v[22:23], s[6:7]
	v_mov_b32_e32 v12, 0
	s_wait_kmcnt 0x0
	v_lshl_add_u64 v[8:9], v[14:15], 3, s[8:9]
	v_lshl_add_u64 v[10:11], v[14:15], 2, s[10:11]
	s_xor_b32 exec_lo, exec_lo, s19
	s_cbranch_execz .LBB18_28
; %bb.18:
	v_mov_b32_e32 v12, 0
	s_ashr_i32 s3, s30, 31
	s_mov_b32 s2, s30
	s_mov_b32 s15, 0
	s_lshl_b64 s[6:7], s[2:3], 3
	s_mov_b32 s20, 0
	s_mov_b32 s14, s15
	s_branch .LBB18_20
.LBB18_19:                              ;   in Loop: Header=BB18_20 Depth=1
	s_or_b32 exec_lo, exec_lo, s16
	s_add_co_i32 s14, s14, 1
	s_delay_alu instid0(SALU_CYCLE_1) | instskip(SKIP_1) | instid1(SALU_CYCLE_1)
	v_cmp_eq_u32_e32 vcc_lo, s14, v32
	s_or_b32 s20, vcc_lo, s20
	s_and_not1_b32 exec_lo, exec_lo, s20
	s_cbranch_execz .LBB18_27
.LBB18_20:                              ; =>This Loop Header: Depth=1
                                        ;     Child Loop BB18_25 Depth 2
	s_cmp_eq_u32 s14, 0
	s_cbranch_scc1 .LBB18_22
; %bb.21:                               ;   in Loop: Header=BB18_20 Depth=1
	v_lshl_add_u64 v[22:23], s[14:15], 2, v[20:21]
	s_mov_b64 s[16:17], s[14:15]
	global_load_b32 v26, v[22:23], off offset:-4
	s_branch .LBB18_23
.LBB18_22:                              ;   in Loop: Header=BB18_20 Depth=1
	v_mov_b32_e32 v26, 0
	s_mov_b64 s[16:17], 0
.LBB18_23:                              ;   in Loop: Header=BB18_20 Depth=1
	s_wait_xcnt 0x0
	v_lshl_add_u64 v[22:23], s[16:17], 2, v[16:17]
	s_mov_b32 s16, exec_lo
	global_load_b32 v13, v[22:23], off
	s_wait_loadcnt 0x0
	v_cmpx_lt_i32_e32 0, v13
	s_cbranch_execz .LBB18_19
; %bb.24:                               ;   in Loop: Header=BB18_20 Depth=1
	v_dual_ashrrev_i32 v27, 31, v26 :: v_dual_ashrrev_i32 v13, 31, v12
	s_mov_b32 s17, 0
	s_mov_b32 s21, 0
	s_delay_alu instid0(VALU_DEP_1)
	v_lshl_add_u64 v[24:25], v[26:27], 3, v[2:3]
	v_lshl_add_u64 v[26:27], v[26:27], 2, v[4:5]
	v_lshl_add_u64 v[28:29], v[12:13], 3, v[8:9]
	v_lshl_add_u64 v[30:31], v[12:13], 2, v[10:11]
.LBB18_25:                              ;   Parent Loop BB18_20 Depth=1
                                        ; =>  This Inner Loop Header: Depth=2
	global_load_b32 v13, v[26:27], off
	s_add_co_i32 s21, s21, 1
	v_add_nc_u64_e32 v[36:37], s[6:7], v[28:29]
	s_wait_xcnt 0x0
	v_add_nc_u64_e32 v[26:27], 4, v[26:27]
	s_wait_loadcnt 0x0
	global_store_b32 v[30:31], v13, off
	global_load_b32 v13, v[22:23], off
	global_load_b64 v[34:35], v[24:25], off
	s_wait_xcnt 0x0
	v_add_nc_u64_e32 v[24:25], 8, v[24:25]
	v_add_nc_u64_e32 v[30:31], 4, v[30:31]
	s_wait_loadcnt 0x1
	v_cmp_ge_i32_e32 vcc_lo, s21, v13
	s_wait_loadcnt 0x0
	global_store_b64 v[28:29], v[34:35], off
	s_wait_xcnt 0x0
	v_add_nc_u64_e32 v[28:29], 8, v[28:29]
	v_add_nc_u32_e32 v13, s21, v12
	global_store_b64 v[36:37], v[34:35], off
	s_or_b32 s17, vcc_lo, s17
	s_wait_xcnt 0x0
	s_and_not1_b32 exec_lo, exec_lo, s17
	s_cbranch_execnz .LBB18_25
; %bb.26:                               ;   in Loop: Header=BB18_20 Depth=1
	s_or_b32 exec_lo, exec_lo, s17
	v_mov_b32_e32 v12, v13
	s_branch .LBB18_19
.LBB18_27:
	s_or_b32 exec_lo, exec_lo, s20
	v_mov_b64_e32 v[22:23], s[2:3]
.LBB18_28:
	s_or_b32 exec_lo, exec_lo, s19
; %bb.29:
	s_delay_alu instid0(VALU_DEP_1)
	v_lshl_add_u64 v[16:17], v[22:23], 3, v[8:9]
	s_mov_b32 s6, 1
	s_mov_b32 s3, exec_lo
	v_cmpx_lt_i32_e32 1, v12
	s_cbranch_execz .LBB18_37
; %bb.30:
	v_lshlrev_b64_e32 v[14:15], 3, v[14:15]
	s_cmp_lg_u64 s[10:11], 0
	s_delay_alu instid0(VALU_DEP_1) | instskip(NEXT) | instid1(VALU_DEP_1)
	v_lshl_add_u64 v[14:15], v[22:23], 3, v[14:15]
	v_add_nc_u64_e32 v[20:21], s[8:9], v[14:15]
	v_lshl_add_u64 v[14:15], v[22:23], 2, v[10:11]
	s_cselect_b32 s8, -1, 0
	s_mov_b32 s9, 0
	s_delay_alu instid0(VALU_DEP_2)
	v_add_nc_u64_e32 v[20:21], 8, v[20:21]
	s_branch .LBB18_32
.LBB18_31:                              ;   in Loop: Header=BB18_32 Depth=1
	s_wait_xcnt 0x0
	s_or_b32 exec_lo, exec_lo, s2
	s_add_co_i32 s6, s6, 1
	v_add_nc_u64_e32 v[20:21], 8, v[20:21]
	v_cmp_eq_u32_e32 vcc_lo, s6, v12
	s_or_b32 s9, vcc_lo, s9
	s_delay_alu instid0(SALU_CYCLE_1)
	s_and_not1_b32 exec_lo, exec_lo, s9
	s_cbranch_execz .LBB18_37
.LBB18_32:                              ; =>This Loop Header: Depth=1
                                        ;     Child Loop BB18_33 Depth 2
	s_ashr_i32 s7, s6, 31
	s_add_co_i32 s10, s6, -1
	v_lshl_add_u64 v[24:25], s[6:7], 3, v[16:17]
	s_delay_alu instid0(VALU_DEP_2)
	v_mov_b64_e32 v[30:31], v[20:21]
	v_mov_b32_e32 v22, s10
	s_mov_b32 s11, 0
	s_mov_b32 s14, s6
	global_load_b64 v[26:27], v[24:25], off offset:-8
	s_wait_loadcnt 0x0
	v_mov_b64_e32 v[28:29], v[26:27]
.LBB18_33:                              ;   Parent Loop BB18_32 Depth=1
                                        ; =>  This Inner Loop Header: Depth=2
	global_load_b64 v[32:33], v[30:31], off
	s_wait_xcnt 0x0
	v_add_nc_u64_e32 v[30:31], 8, v[30:31]
	s_wait_loadcnt 0x0
	v_cmp_lt_f64_e32 vcc_lo, v[32:33], v[28:29]
	v_cndmask_b32_e64 v22, v22, s14, vcc_lo
	s_add_co_i32 s14, s14, 1
	v_dual_cndmask_b32 v29, v29, v33 :: v_dual_cndmask_b32 v28, v28, v32
	v_cmp_eq_u32_e64 s2, s14, v12
	s_or_b32 s11, s2, s11
	s_delay_alu instid0(SALU_CYCLE_1)
	s_and_not1_b32 exec_lo, exec_lo, s11
	s_cbranch_execnz .LBB18_33
; %bb.34:                               ;   in Loop: Header=BB18_32 Depth=1
	s_or_b32 exec_lo, exec_lo, s11
	s_delay_alu instid0(SALU_CYCLE_1)
	s_mov_b32 s2, exec_lo
	v_cmpx_ne_u32_e64 s10, v22
	s_cbranch_execz .LBB18_31
; %bb.35:                               ;   in Loop: Header=BB18_32 Depth=1
	v_ashrrev_i32_e32 v23, 31, v22
	s_and_not1_b32 vcc_lo, exec_lo, s8
	s_delay_alu instid0(VALU_DEP_1)
	v_lshl_add_u64 v[30:31], v[22:23], 3, v[16:17]
	s_clause 0x1
	global_store_b64 v[30:31], v[26:27], off
	global_store_b64 v[24:25], v[28:29], off offset:-8
	s_cbranch_vccnz .LBB18_31
; %bb.36:                               ;   in Loop: Header=BB18_32 Depth=1
	s_wait_xcnt 0x0
	v_lshl_add_u64 v[24:25], s[6:7], 2, v[14:15]
	v_lshl_add_u64 v[22:23], v[22:23], 2, v[14:15]
	s_clause 0x1
	global_load_b32 v13, v[24:25], off offset:-4
	global_load_b32 v19, v[22:23], off
	s_wait_loadcnt 0x1
	global_store_b32 v[22:23], v13, off
	s_wait_loadcnt 0x0
	global_store_b32 v[24:25], v19, off offset:-4
	s_branch .LBB18_31
.LBB18_37:
	s_or_b32 exec_lo, exec_lo, s3
	v_mov_b32_e32 v14, 0
	s_mov_b32 s6, exec_lo
	v_cmpx_lt_i32_e32 0, v12
	s_cbranch_execz .LBB18_52
; %bb.38:
	s_load_b128 s[8:11], s[0:1], 0x18
	v_add_nc_u32_e32 v13, -1, v12
	s_wait_loadcnt 0x0
	v_xor_b32_e32 v36, 0x80000000, v7
	s_wait_kmcnt 0x0
	s_ashr_i32 s1, s11, 31
	s_mov_b32 s0, s11
	s_ashr_i32 s3, s10, 31
	v_mul_u64_e32 v[14:15], s[0:1], v[0:1]
	s_add_co_i32 s1, s30, -1
	s_mov_b32 s2, s10
	v_mul_lo_u32 v20, v0, s1
	s_lshl_b64 s[2:3], s[2:3], 3
	v_ashrrev_i32_e32 v19, 31, v18
	s_add_nc_u64 s[10:11], s[8:9], s[2:3]
	s_cmp_gt_i32 s30, 1
	s_cselect_b32 s7, -1, 0
	s_delay_alu instid0(VALU_DEP_2) | instskip(SKIP_1) | instid1(VALU_DEP_2)
	v_ashrrev_i32_e32 v21, 31, v20
	v_lshl_add_u64 v[18:19], v[18:19], 3, s[26:27]
	v_lshl_add_u64 v[20:21], v[20:21], 3, s[24:25]
	v_lshlrev_b64_e32 v[14:15], 3, v[14:15]
	s_delay_alu instid0(VALU_DEP_1) | instskip(SKIP_3) | instid1(VALU_DEP_3)
	v_add_nc_u64_e32 v[22:23], s[8:9], v[14:15]
	v_add_nc_u64_e32 v[24:25], s[10:11], v[14:15]
	v_mov_b32_e32 v14, 0
	s_mov_b32 s8, 0
	v_add_nc_u64_e32 v[22:23], s[2:3], v[22:23]
	s_delay_alu instid0(VALU_DEP_3) | instskip(SKIP_1) | instid1(SALU_CYCLE_1)
	v_add_nc_u64_e32 v[24:25], 8, v[24:25]
	s_mov_b32 s3, 0
	s_mov_b32 s2, s3
	s_branch .LBB18_41
.LBB18_39:                              ;   in Loop: Header=BB18_41 Depth=1
	s_wait_xcnt 0x0
	s_or_b32 exec_lo, exec_lo, s0
.LBB18_40:                              ;   in Loop: Header=BB18_41 Depth=1
	s_delay_alu instid0(SALU_CYCLE_1) | instskip(SKIP_1) | instid1(SALU_CYCLE_1)
	s_or_b32 exec_lo, exec_lo, s9
	s_add_co_i32 s2, s2, 1
	v_cmp_eq_u32_e32 vcc_lo, s2, v12
	s_or_b32 s8, vcc_lo, s8
	s_delay_alu instid0(SALU_CYCLE_1)
	s_and_not1_b32 exec_lo, exec_lo, s8
	s_cbranch_execz .LBB18_51
.LBB18_41:                              ; =>This Loop Header: Depth=1
                                        ;     Child Loop BB18_43 Depth 2
                                        ;     Child Loop BB18_48 Depth 2
	v_lshl_add_u64 v[26:27], s[2:3], 3, v[8:9]
	v_mov_b64_e32 v[32:33], v[16:17]
	s_mov_b32 s0, s3
	s_mov_b32 s14, s3
                                        ; implicit-def: $sgpr9
                                        ; implicit-def: $sgpr11
                                        ; implicit-def: $sgpr10
	global_load_b64 v[26:27], v[26:27], off
	s_branch .LBB18_43
.LBB18_42:                              ;   in Loop: Header=BB18_43 Depth=2
	s_or_b32 exec_lo, exec_lo, s16
	s_delay_alu instid0(SALU_CYCLE_1) | instskip(SKIP_4) | instid1(SALU_CYCLE_1)
	s_and_b32 s16, exec_lo, s11
	v_mov_b32_e32 v15, s14
	s_or_b32 s0, s16, s0
	s_and_not1_b32 s9, s9, exec_lo
	s_and_b32 s14, s10, exec_lo
	s_or_b32 s9, s9, s14
	s_mov_b32 s14, s15
	s_and_not1_b32 exec_lo, exec_lo, s0
	s_cbranch_execz .LBB18_45
.LBB18_43:                              ;   Parent Loop BB18_41 Depth=1
                                        ; =>  This Inner Loop Header: Depth=2
	global_load_b64 v[28:29], v[32:33], off
	v_mov_b64_e32 v[30:31], v[32:33]
	s_or_b32 s10, s10, exec_lo
	s_or_b32 s11, s11, exec_lo
	s_mov_b32 s16, exec_lo
                                        ; implicit-def: $sgpr15
                                        ; implicit-def: $vgpr32_vgpr33
	s_wait_loadcnt 0x0
	v_cmpx_neq_f64_e32 v[26:27], v[28:29]
	s_cbranch_execz .LBB18_42
; %bb.44:                               ;   in Loop: Header=BB18_43 Depth=2
	s_add_co_i32 s15, s14, 1
	v_add_nc_u64_e32 v[32:33], 8, v[30:31]
	v_cmp_eq_u32_e32 vcc_lo, s15, v12
	s_and_not1_b32 s11, s11, exec_lo
	s_and_not1_b32 s10, s10, exec_lo
	s_and_b32 s17, vcc_lo, exec_lo
	s_delay_alu instid0(SALU_CYCLE_1)
	s_or_b32 s11, s11, s17
	s_branch .LBB18_42
.LBB18_45:                              ;   in Loop: Header=BB18_41 Depth=1
	s_or_b32 exec_lo, exec_lo, s0
	s_and_saveexec_b32 s0, s9
	s_delay_alu instid0(SALU_CYCLE_1)
	s_xor_b32 s9, exec_lo, s0
	s_cbranch_execz .LBB18_40
; %bb.46:                               ;   in Loop: Header=BB18_41 Depth=1
	v_cmp_eq_u32_e32 vcc_lo, v15, v13
	v_dual_cndmask_b32 v31, v31, v19 :: v_dual_cndmask_b32 v30, v30, v18
	s_and_not1_b32 vcc_lo, exec_lo, s7
	global_load_b64 v[32:33], v[30:31], off offset:8
	global_load_b64 v[34:35], v[22:23], off
	s_wait_loadcnt 0x1
	v_add_f64_e64 v[28:29], v[32:33], -v[28:29]
	s_delay_alu instid0(VALU_DEP_1) | instskip(SKIP_1) | instid1(VALU_DEP_1)
	v_fma_f64 v[28:29], 0.5, v[28:29], v[26:27]
	s_wait_loadcnt 0x0
	v_add_f64_e64 v[32:33], v[34:35], -v[28:29]
	s_delay_alu instid0(VALU_DEP_1) | instskip(NEXT) | instid1(VALU_DEP_1)
	v_cmp_le_f64_e64 s0, v[32:33], v[6:7]
	v_cndmask_b32_e64 v15, 0, 1, s0
	s_cbranch_vccnz .LBB18_49
; %bb.47:                               ;   in Loop: Header=BB18_41 Depth=1
	v_cmp_gt_f64_e64 s10, v[32:33], -v[6:7]
	s_wait_xcnt 0x1
	v_mov_b64_e32 v[30:31], v[20:21]
	s_and_b32 vcc_lo, s0, s10
	s_mov_b32 s0, s1
	v_dual_cndmask_b32 v35, v33, v36 :: v_dual_cndmask_b32 v34, v32, v6
	v_mov_b64_e32 v[32:33], v[24:25]
.LBB18_48:                              ;   Parent Loop BB18_41 Depth=1
                                        ; =>  This Inner Loop Header: Depth=2
	global_load_b64 v[38:39], v[30:31], off
	global_load_b64 v[40:41], v[32:33], off
	s_wait_xcnt 0x0
	v_add_nc_u64_e32 v[32:33], 8, v[32:33]
	v_add_nc_u64_e32 v[30:31], 8, v[30:31]
	s_add_co_i32 s0, s0, -1
	s_wait_loadcnt 0x1
	v_div_scale_f64 v[42:43], null, v[34:35], v[34:35], v[38:39]
	v_div_scale_f64 v[48:49], vcc_lo, v[38:39], v[34:35], v[38:39]
	s_wait_loadcnt 0x0
	v_add_f64_e64 v[40:41], v[40:41], -v[28:29]
	s_delay_alu instid0(VALU_DEP_3) | instskip(SKIP_1) | instid1(TRANS32_DEP_1)
	v_rcp_f64_e32 v[44:45], v[42:43]
	v_nop
	v_fma_f64 v[46:47], -v[42:43], v[44:45], 1.0
	s_delay_alu instid0(VALU_DEP_1) | instskip(NEXT) | instid1(VALU_DEP_1)
	v_fmac_f64_e32 v[44:45], v[44:45], v[46:47]
	v_fma_f64 v[46:47], -v[42:43], v[44:45], 1.0
	s_delay_alu instid0(VALU_DEP_1) | instskip(NEXT) | instid1(VALU_DEP_1)
	v_fmac_f64_e32 v[44:45], v[44:45], v[46:47]
	v_mul_f64_e32 v[46:47], v[48:49], v[44:45]
	s_delay_alu instid0(VALU_DEP_1) | instskip(NEXT) | instid1(VALU_DEP_1)
	v_fma_f64 v[42:43], -v[42:43], v[46:47], v[48:49]
	v_div_fmas_f64 v[42:43], v[42:43], v[44:45], v[46:47]
	s_delay_alu instid0(VALU_DEP_1) | instskip(NEXT) | instid1(VALU_DEP_1)
	v_div_fixup_f64 v[34:35], v[42:43], v[34:35], v[38:39]
	v_add_f64_e64 v[34:35], v[40:41], -v[34:35]
	s_delay_alu instid0(VALU_DEP_1)
	v_cmp_le_f64_e32 vcc_lo, v[34:35], v[6:7]
	v_cmp_gt_f64_e64 s10, v[34:35], -v[6:7]
	v_add_co_ci_u32_e64 v15, null, 0, v15, vcc_lo
	s_and_b32 vcc_lo, vcc_lo, s10
	s_cmp_lg_u32 s0, 0
	v_dual_cndmask_b32 v35, v35, v36 :: v_dual_cndmask_b32 v34, v34, v6
	s_cbranch_scc1 .LBB18_48
.LBB18_49:                              ;   in Loop: Header=BB18_41 Depth=1
	s_delay_alu instid0(VALU_DEP_1)
	v_cmp_le_i32_e32 vcc_lo, s31, v15
	v_cmp_ge_i32_e64 s0, s18, v15
	s_and_b32 s10, vcc_lo, s0
	s_wait_xcnt 0x0
	s_and_saveexec_b32 s0, s10
	s_cbranch_execz .LBB18_39
; %bb.50:                               ;   in Loop: Header=BB18_41 Depth=1
	v_lshl_add_u64 v[28:29], s[2:3], 2, v[10:11]
	v_ashrrev_i32_e32 v15, 31, v14
	global_load_b32 v32, v[28:29], off
	s_wait_xcnt 0x0
	v_lshl_add_u64 v[28:29], v[14:15], 3, v[2:3]
	v_lshl_add_u64 v[30:31], v[14:15], 2, v[4:5]
	v_add_nc_u32_e32 v14, 1, v14
	global_store_b64 v[28:29], v[26:27], off
	s_wait_loadcnt 0x0
	global_store_b32 v[30:31], v32, off
	s_branch .LBB18_39
.LBB18_51:
	s_or_b32 exec_lo, exec_lo, s8
.LBB18_52:
	s_delay_alu instid0(SALU_CYCLE_1)
	s_or_b32 exec_lo, exec_lo, s6
.LBB18_53:
	v_cmp_lt_i32_e32 vcc_lo, 1, v14
	s_cmp_eq_u32 s29, 0xf2
	v_lshl_add_u64 v[0:1], v[0:1], 2, s[4:5]
	s_cselect_b32 s0, -1, 0
	s_mov_b32 s2, 1
	s_and_b32 s0, s0, vcc_lo
	global_store_b32 v[0:1], v14, off
	s_wait_xcnt 0x0
	s_and_b32 exec_lo, exec_lo, s0
	s_cbranch_execz .LBB18_61
; %bb.54:
	v_add_nc_u64_e32 v[0:1], 8, v[2:3]
	s_cmp_lg_u64 s[12:13], 0
	s_mov_b32 s4, 0
	s_cselect_b32 s1, -1, 0
	s_branch .LBB18_56
.LBB18_55:                              ;   in Loop: Header=BB18_56 Depth=1
	s_wait_xcnt 0x0
	s_or_b32 exec_lo, exec_lo, s0
	s_add_co_i32 s2, s2, 1
	v_add_nc_u64_e32 v[0:1], 8, v[0:1]
	v_cmp_eq_u32_e32 vcc_lo, s2, v14
	s_or_b32 s4, vcc_lo, s4
	s_delay_alu instid0(SALU_CYCLE_1)
	s_and_not1_b32 exec_lo, exec_lo, s4
	s_cbranch_execz .LBB18_61
.LBB18_56:                              ; =>This Loop Header: Depth=1
                                        ;     Child Loop BB18_57 Depth 2
	s_ashr_i32 s3, s2, 31
	s_add_co_i32 s5, s2, -1
	v_lshl_add_u64 v[8:9], s[2:3], 3, v[2:3]
	v_mov_b64_e32 v[16:17], v[0:1]
	s_wait_loadcnt 0x0
	v_mov_b32_e32 v6, s5
	s_mov_b32 s6, 0
	s_mov_b32 s7, s2
	global_load_b64 v[10:11], v[8:9], off offset:-8
	s_wait_loadcnt 0x0
	v_mov_b64_e32 v[12:13], v[10:11]
.LBB18_57:                              ;   Parent Loop BB18_56 Depth=1
                                        ; =>  This Inner Loop Header: Depth=2
	global_load_b64 v[18:19], v[16:17], off
	s_wait_xcnt 0x0
	v_add_nc_u64_e32 v[16:17], 8, v[16:17]
	s_wait_loadcnt 0x0
	v_cmp_lt_f64_e32 vcc_lo, v[18:19], v[12:13]
	v_cndmask_b32_e64 v6, v6, s7, vcc_lo
	s_add_co_i32 s7, s7, 1
	v_dual_cndmask_b32 v13, v13, v19 :: v_dual_cndmask_b32 v12, v12, v18
	v_cmp_eq_u32_e64 s0, s7, v14
	s_or_b32 s6, s0, s6
	s_delay_alu instid0(SALU_CYCLE_1)
	s_and_not1_b32 exec_lo, exec_lo, s6
	s_cbranch_execnz .LBB18_57
; %bb.58:                               ;   in Loop: Header=BB18_56 Depth=1
	s_or_b32 exec_lo, exec_lo, s6
	s_delay_alu instid0(SALU_CYCLE_1)
	s_mov_b32 s0, exec_lo
	v_cmpx_ne_u32_e64 s5, v6
	s_cbranch_execz .LBB18_55
; %bb.59:                               ;   in Loop: Header=BB18_56 Depth=1
	v_ashrrev_i32_e32 v7, 31, v6
	s_and_not1_b32 vcc_lo, exec_lo, s1
	s_delay_alu instid0(VALU_DEP_1)
	v_lshl_add_u64 v[16:17], v[6:7], 3, v[2:3]
	s_clause 0x1
	global_store_b64 v[16:17], v[10:11], off
	global_store_b64 v[8:9], v[12:13], off offset:-8
	s_cbranch_vccnz .LBB18_55
; %bb.60:                               ;   in Loop: Header=BB18_56 Depth=1
	s_wait_xcnt 0x0
	v_lshl_add_u64 v[8:9], s[2:3], 2, v[4:5]
	v_lshl_add_u64 v[6:7], v[6:7], 2, v[4:5]
	s_clause 0x1
	global_load_b32 v10, v[8:9], off offset:-4
	global_load_b32 v11, v[6:7], off
	s_wait_loadcnt 0x1
	global_store_b32 v[6:7], v10, off
	s_wait_loadcnt 0x0
	global_store_b32 v[8:9], v11, off offset:-4
	s_branch .LBB18_55
.LBB18_61:
	s_endpgm
	.section	.rodata,"a",@progbits
	.p2align	6, 0x0
	.amdhsa_kernel _ZN9rocsolver6v33100L22stebz_synthesis_kernelIdPdEEv15rocblas_erange_15rocblas_eorder_iiiT0_iiPiS6_PT_lS6_lS6_liS6_S8_S8_S8_S8_S6_S7_
		.amdhsa_group_segment_fixed_size 0
		.amdhsa_private_segment_fixed_size 0
		.amdhsa_kernarg_size 424
		.amdhsa_user_sgpr_count 2
		.amdhsa_user_sgpr_dispatch_ptr 0
		.amdhsa_user_sgpr_queue_ptr 0
		.amdhsa_user_sgpr_kernarg_segment_ptr 1
		.amdhsa_user_sgpr_dispatch_id 0
		.amdhsa_user_sgpr_kernarg_preload_length 0
		.amdhsa_user_sgpr_kernarg_preload_offset 0
		.amdhsa_user_sgpr_private_segment_size 0
		.amdhsa_wavefront_size32 1
		.amdhsa_uses_dynamic_stack 0
		.amdhsa_enable_private_segment 0
		.amdhsa_system_sgpr_workgroup_id_x 1
		.amdhsa_system_sgpr_workgroup_id_y 0
		.amdhsa_system_sgpr_workgroup_id_z 0
		.amdhsa_system_sgpr_workgroup_info 0
		.amdhsa_system_vgpr_workitem_id 0
		.amdhsa_next_free_vgpr 50
		.amdhsa_next_free_sgpr 32
		.amdhsa_named_barrier_count 0
		.amdhsa_reserve_vcc 1
		.amdhsa_float_round_mode_32 0
		.amdhsa_float_round_mode_16_64 0
		.amdhsa_float_denorm_mode_32 3
		.amdhsa_float_denorm_mode_16_64 3
		.amdhsa_fp16_overflow 0
		.amdhsa_memory_ordered 1
		.amdhsa_forward_progress 1
		.amdhsa_inst_pref_size 22
		.amdhsa_round_robin_scheduling 0
		.amdhsa_exception_fp_ieee_invalid_op 0
		.amdhsa_exception_fp_denorm_src 0
		.amdhsa_exception_fp_ieee_div_zero 0
		.amdhsa_exception_fp_ieee_overflow 0
		.amdhsa_exception_fp_ieee_underflow 0
		.amdhsa_exception_fp_ieee_inexact 0
		.amdhsa_exception_int_div_zero 0
	.end_amdhsa_kernel
	.section	.text._ZN9rocsolver6v33100L22stebz_synthesis_kernelIdPdEEv15rocblas_erange_15rocblas_eorder_iiiT0_iiPiS6_PT_lS6_lS6_liS6_S8_S8_S8_S8_S6_S7_,"axG",@progbits,_ZN9rocsolver6v33100L22stebz_synthesis_kernelIdPdEEv15rocblas_erange_15rocblas_eorder_iiiT0_iiPiS6_PT_lS6_lS6_liS6_S8_S8_S8_S8_S6_S7_,comdat
.Lfunc_end18:
	.size	_ZN9rocsolver6v33100L22stebz_synthesis_kernelIdPdEEv15rocblas_erange_15rocblas_eorder_iiiT0_iiPiS6_PT_lS6_lS6_liS6_S8_S8_S8_S8_S6_S7_, .Lfunc_end18-_ZN9rocsolver6v33100L22stebz_synthesis_kernelIdPdEEv15rocblas_erange_15rocblas_eorder_iiiT0_iiPiS6_PT_lS6_lS6_liS6_S8_S8_S8_S8_S6_S7_
                                        ; -- End function
	.set _ZN9rocsolver6v33100L22stebz_synthesis_kernelIdPdEEv15rocblas_erange_15rocblas_eorder_iiiT0_iiPiS6_PT_lS6_lS6_liS6_S8_S8_S8_S8_S6_S7_.num_vgpr, 50
	.set _ZN9rocsolver6v33100L22stebz_synthesis_kernelIdPdEEv15rocblas_erange_15rocblas_eorder_iiiT0_iiPiS6_PT_lS6_lS6_liS6_S8_S8_S8_S8_S6_S7_.num_agpr, 0
	.set _ZN9rocsolver6v33100L22stebz_synthesis_kernelIdPdEEv15rocblas_erange_15rocblas_eorder_iiiT0_iiPiS6_PT_lS6_lS6_liS6_S8_S8_S8_S8_S6_S7_.numbered_sgpr, 32
	.set _ZN9rocsolver6v33100L22stebz_synthesis_kernelIdPdEEv15rocblas_erange_15rocblas_eorder_iiiT0_iiPiS6_PT_lS6_lS6_liS6_S8_S8_S8_S8_S6_S7_.num_named_barrier, 0
	.set _ZN9rocsolver6v33100L22stebz_synthesis_kernelIdPdEEv15rocblas_erange_15rocblas_eorder_iiiT0_iiPiS6_PT_lS6_lS6_liS6_S8_S8_S8_S8_S6_S7_.private_seg_size, 0
	.set _ZN9rocsolver6v33100L22stebz_synthesis_kernelIdPdEEv15rocblas_erange_15rocblas_eorder_iiiT0_iiPiS6_PT_lS6_lS6_liS6_S8_S8_S8_S8_S6_S7_.uses_vcc, 1
	.set _ZN9rocsolver6v33100L22stebz_synthesis_kernelIdPdEEv15rocblas_erange_15rocblas_eorder_iiiT0_iiPiS6_PT_lS6_lS6_liS6_S8_S8_S8_S8_S6_S7_.uses_flat_scratch, 0
	.set _ZN9rocsolver6v33100L22stebz_synthesis_kernelIdPdEEv15rocblas_erange_15rocblas_eorder_iiiT0_iiPiS6_PT_lS6_lS6_liS6_S8_S8_S8_S8_S6_S7_.has_dyn_sized_stack, 0
	.set _ZN9rocsolver6v33100L22stebz_synthesis_kernelIdPdEEv15rocblas_erange_15rocblas_eorder_iiiT0_iiPiS6_PT_lS6_lS6_liS6_S8_S8_S8_S8_S6_S7_.has_recursion, 0
	.set _ZN9rocsolver6v33100L22stebz_synthesis_kernelIdPdEEv15rocblas_erange_15rocblas_eorder_iiiT0_iiPiS6_PT_lS6_lS6_liS6_S8_S8_S8_S8_S6_S7_.has_indirect_call, 0
	.section	.AMDGPU.csdata,"",@progbits
; Kernel info:
; codeLenInByte = 2776
; TotalNumSgprs: 34
; NumVgprs: 50
; ScratchSize: 0
; MemoryBound: 0
; FloatMode: 240
; IeeeMode: 1
; LDSByteSize: 0 bytes/workgroup (compile time only)
; SGPRBlocks: 0
; VGPRBlocks: 3
; NumSGPRsForWavesPerEU: 34
; NumVGPRsForWavesPerEU: 50
; NamedBarCnt: 0
; Occupancy: 16
; WaveLimiterHint : 1
; COMPUTE_PGM_RSRC2:SCRATCH_EN: 0
; COMPUTE_PGM_RSRC2:USER_SGPR: 2
; COMPUTE_PGM_RSRC2:TRAP_HANDLER: 0
; COMPUTE_PGM_RSRC2:TGID_X_EN: 1
; COMPUTE_PGM_RSRC2:TGID_Y_EN: 0
; COMPUTE_PGM_RSRC2:TGID_Z_EN: 0
; COMPUTE_PGM_RSRC2:TIDIG_COMP_CNT: 0
	.section	.text._ZN9rocsolver6v33100L15bdsvdx_abs_eigsIdEEviPiPT_lS4_,"axG",@progbits,_ZN9rocsolver6v33100L15bdsvdx_abs_eigsIdEEviPiPT_lS4_,comdat
	.globl	_ZN9rocsolver6v33100L15bdsvdx_abs_eigsIdEEviPiPT_lS4_ ; -- Begin function _ZN9rocsolver6v33100L15bdsvdx_abs_eigsIdEEviPiPT_lS4_
	.p2align	8
	.type	_ZN9rocsolver6v33100L15bdsvdx_abs_eigsIdEEviPiPT_lS4_,@function
_ZN9rocsolver6v33100L15bdsvdx_abs_eigsIdEEviPiPT_lS4_: ; @_ZN9rocsolver6v33100L15bdsvdx_abs_eigsIdEEviPiPT_lS4_
; %bb.0:
	s_load_b256 s[4:11], s[0:1], 0x8
	s_bfe_u32 s2, ttmp6, 0x40010
	s_bfe_u32 s3, ttmp6, 0x40004
	s_add_co_i32 s2, s2, 1
	s_getreg_b32 s13, hwreg(HW_REG_IB_STS2, 6, 4)
	s_mul_i32 s2, ttmp7, s2
	s_delay_alu instid0(SALU_CYCLE_1) | instskip(SKIP_2) | instid1(SALU_CYCLE_1)
	s_add_co_i32 s3, s3, s2
	s_cmp_eq_u32 s13, 0
	s_cselect_b32 s2, ttmp7, s3
	s_ashr_i32 s3, s2, 31
	s_delay_alu instid0(SALU_CYCLE_1)
	s_lshl_b64 s[14:15], s[2:3], 2
	s_wait_kmcnt 0x0
	s_add_nc_u64 s[4:5], s[4:5], s[14:15]
	s_load_b32 s12, s[0:1], 0x0
	s_load_b32 s14, s[4:5], 0x0
	;; [unrolled: 1-line block ×3, first 2 shown]
	s_wait_kmcnt 0x0
	s_cmp_le_i32 s14, s12
	s_cbranch_scc1 .LBB19_2
; %bb.1:
	v_dual_mov_b32 v1, 0 :: v_dual_mov_b32 v2, s12
	s_mov_b32 s14, s12
	global_store_b32 v1, v2, s[4:5]
.LBB19_2:
	s_bfe_u32 s0, ttmp6, 0x4000c
	s_and_b32 s1, ttmp6, 15
	s_add_co_i32 s0, s0, 1
	s_wait_xcnt 0x0
	s_and_b32 s4, 0xffff, s15
	s_mul_i32 s0, ttmp9, s0
	s_delay_alu instid0(SALU_CYCLE_1) | instskip(SKIP_2) | instid1(SALU_CYCLE_1)
	s_add_co_i32 s1, s1, s0
	s_cmp_eq_u32 s13, 0
	s_cselect_b32 s0, ttmp9, s1
	v_mad_u32 v0, s0, s4, v0
	s_mov_b32 s0, exec_lo
	s_delay_alu instid0(VALU_DEP_1)
	v_cmpx_gt_i32_e64 s14, v0
	s_cbranch_execz .LBB19_4
; %bb.3:
	s_mul_i32 s0, s2, s12
	s_delay_alu instid0(SALU_CYCLE_1) | instskip(NEXT) | instid1(SALU_CYCLE_1)
	s_lshl_b32 s0, s0, 1
	s_ashr_i32 s1, s0, 31
	s_delay_alu instid0(SALU_CYCLE_1) | instskip(NEXT) | instid1(SALU_CYCLE_1)
	s_lshl_b64 s[0:1], s[0:1], 3
	s_add_nc_u64 s[0:1], s[10:11], s[0:1]
	global_load_b64 v[2:3], v0, s[0:1] scale_offset
	s_wait_xcnt 0x0
	s_mul_u64 s[0:1], s[8:9], s[2:3]
	s_delay_alu instid0(SALU_CYCLE_1) | instskip(NEXT) | instid1(SALU_CYCLE_1)
	s_lshl_b64 s[0:1], s[0:1], 3
	s_add_nc_u64 s[0:1], s[6:7], s[0:1]
	s_wait_loadcnt 0x0
	v_xor_b32_e32 v3, 0x80000000, v3
	global_store_b64 v0, v[2:3], s[0:1] scale_offset
.LBB19_4:
	s_endpgm
	.section	.rodata,"a",@progbits
	.p2align	6, 0x0
	.amdhsa_kernel _ZN9rocsolver6v33100L15bdsvdx_abs_eigsIdEEviPiPT_lS4_
		.amdhsa_group_segment_fixed_size 0
		.amdhsa_private_segment_fixed_size 0
		.amdhsa_kernarg_size 296
		.amdhsa_user_sgpr_count 2
		.amdhsa_user_sgpr_dispatch_ptr 0
		.amdhsa_user_sgpr_queue_ptr 0
		.amdhsa_user_sgpr_kernarg_segment_ptr 1
		.amdhsa_user_sgpr_dispatch_id 0
		.amdhsa_user_sgpr_kernarg_preload_length 0
		.amdhsa_user_sgpr_kernarg_preload_offset 0
		.amdhsa_user_sgpr_private_segment_size 0
		.amdhsa_wavefront_size32 1
		.amdhsa_uses_dynamic_stack 0
		.amdhsa_enable_private_segment 0
		.amdhsa_system_sgpr_workgroup_id_x 1
		.amdhsa_system_sgpr_workgroup_id_y 1
		.amdhsa_system_sgpr_workgroup_id_z 0
		.amdhsa_system_sgpr_workgroup_info 0
		.amdhsa_system_vgpr_workitem_id 0
		.amdhsa_next_free_vgpr 4
		.amdhsa_next_free_sgpr 16
		.amdhsa_named_barrier_count 0
		.amdhsa_reserve_vcc 0
		.amdhsa_float_round_mode_32 0
		.amdhsa_float_round_mode_16_64 0
		.amdhsa_float_denorm_mode_32 3
		.amdhsa_float_denorm_mode_16_64 3
		.amdhsa_fp16_overflow 0
		.amdhsa_memory_ordered 1
		.amdhsa_forward_progress 1
		.amdhsa_inst_pref_size 3
		.amdhsa_round_robin_scheduling 0
		.amdhsa_exception_fp_ieee_invalid_op 0
		.amdhsa_exception_fp_denorm_src 0
		.amdhsa_exception_fp_ieee_div_zero 0
		.amdhsa_exception_fp_ieee_overflow 0
		.amdhsa_exception_fp_ieee_underflow 0
		.amdhsa_exception_fp_ieee_inexact 0
		.amdhsa_exception_int_div_zero 0
	.end_amdhsa_kernel
	.section	.text._ZN9rocsolver6v33100L15bdsvdx_abs_eigsIdEEviPiPT_lS4_,"axG",@progbits,_ZN9rocsolver6v33100L15bdsvdx_abs_eigsIdEEviPiPT_lS4_,comdat
.Lfunc_end19:
	.size	_ZN9rocsolver6v33100L15bdsvdx_abs_eigsIdEEviPiPT_lS4_, .Lfunc_end19-_ZN9rocsolver6v33100L15bdsvdx_abs_eigsIdEEviPiPT_lS4_
                                        ; -- End function
	.set _ZN9rocsolver6v33100L15bdsvdx_abs_eigsIdEEviPiPT_lS4_.num_vgpr, 4
	.set _ZN9rocsolver6v33100L15bdsvdx_abs_eigsIdEEviPiPT_lS4_.num_agpr, 0
	.set _ZN9rocsolver6v33100L15bdsvdx_abs_eigsIdEEviPiPT_lS4_.numbered_sgpr, 16
	.set _ZN9rocsolver6v33100L15bdsvdx_abs_eigsIdEEviPiPT_lS4_.num_named_barrier, 0
	.set _ZN9rocsolver6v33100L15bdsvdx_abs_eigsIdEEviPiPT_lS4_.private_seg_size, 0
	.set _ZN9rocsolver6v33100L15bdsvdx_abs_eigsIdEEviPiPT_lS4_.uses_vcc, 0
	.set _ZN9rocsolver6v33100L15bdsvdx_abs_eigsIdEEviPiPT_lS4_.uses_flat_scratch, 0
	.set _ZN9rocsolver6v33100L15bdsvdx_abs_eigsIdEEviPiPT_lS4_.has_dyn_sized_stack, 0
	.set _ZN9rocsolver6v33100L15bdsvdx_abs_eigsIdEEviPiPT_lS4_.has_recursion, 0
	.set _ZN9rocsolver6v33100L15bdsvdx_abs_eigsIdEEviPiPT_lS4_.has_indirect_call, 0
	.section	.AMDGPU.csdata,"",@progbits
; Kernel info:
; codeLenInByte = 296
; TotalNumSgprs: 16
; NumVgprs: 4
; ScratchSize: 0
; MemoryBound: 0
; FloatMode: 240
; IeeeMode: 1
; LDSByteSize: 0 bytes/workgroup (compile time only)
; SGPRBlocks: 0
; VGPRBlocks: 0
; NumSGPRsForWavesPerEU: 16
; NumVGPRsForWavesPerEU: 4
; NamedBarCnt: 0
; Occupancy: 16
; WaveLimiterHint : 0
; COMPUTE_PGM_RSRC2:SCRATCH_EN: 0
; COMPUTE_PGM_RSRC2:USER_SGPR: 2
; COMPUTE_PGM_RSRC2:TRAP_HANDLER: 0
; COMPUTE_PGM_RSRC2:TGID_X_EN: 1
; COMPUTE_PGM_RSRC2:TGID_Y_EN: 1
; COMPUTE_PGM_RSRC2:TGID_Z_EN: 0
; COMPUTE_PGM_RSRC2:TIDIG_COMP_CNT: 0
	.section	.text._ZN9rocsolver6v33100L12stein_kernelIddPdEEviPT0_lS4_lPiS4_lS5_lS5_lT1_iilS5_lS5_S4_S5_S3_S3_,"axG",@progbits,_ZN9rocsolver6v33100L12stein_kernelIddPdEEviPT0_lS4_lPiS4_lS5_lS5_lT1_iilS5_lS5_S4_S5_S3_S3_,comdat
	.globl	_ZN9rocsolver6v33100L12stein_kernelIddPdEEviPT0_lS4_lPiS4_lS5_lS5_lT1_iilS5_lS5_S4_S5_S3_S3_ ; -- Begin function _ZN9rocsolver6v33100L12stein_kernelIddPdEEviPT0_lS4_lPiS4_lS5_lS5_lT1_iilS5_lS5_S4_S5_S3_S3_
	.p2align	8
	.type	_ZN9rocsolver6v33100L12stein_kernelIddPdEEviPT0_lS4_lPiS4_lS5_lS5_lT1_iilS5_lS5_S4_S5_S3_S3_,@function
_ZN9rocsolver6v33100L12stein_kernelIddPdEEviPT0_lS4_lPiS4_lS5_lS5_lT1_iilS5_lS5_S4_S5_S3_S3_: ; @_ZN9rocsolver6v33100L12stein_kernelIddPdEEviPT0_lS4_lPiS4_lS5_lS5_lT1_iilS5_lS5_S4_S5_S3_S3_
; %bb.0:
	s_load_b512 s[36:51], s[0:1], 0x8
	s_bfe_u32 s2, ttmp6, 0x40010
	s_bfe_u32 s3, ttmp6, 0x40004
	s_add_co_i32 s2, s2, 1
	s_getreg_b32 s4, hwreg(HW_REG_IB_STS2, 6, 4)
	s_mul_i32 s2, ttmp7, s2
	s_delay_alu instid0(SALU_CYCLE_1) | instskip(SKIP_2) | instid1(SALU_CYCLE_1)
	s_add_co_i32 s3, s3, s2
	s_cmp_eq_u32 s4, 0
	s_cselect_b32 s4, ttmp7, s3
	s_ashr_i32 s5, s4, 31
	s_delay_alu instid0(SALU_CYCLE_1)
	s_lshl_b64 s[6:7], s[4:5], 2
	s_wait_kmcnt 0x0
	s_add_nc_u64 s[2:3], s[44:45], s[6:7]
	s_load_b32 s44, s[2:3], 0x0
	s_wait_kmcnt 0x0
	s_cmp_lt_i32 s44, 1
	s_cbranch_scc1 .LBB20_260
; %bb.1:
	s_load_b512 s[8:23], s[0:1], 0x70
                                        ; implicit-def: $vgpr62 : SGPR spill to VGPR lane
	s_mov_b64 s[52:53], 0
	v_writelane_b32 v62, s6, 0
	v_writelane_b32 v62, s7, 1
	s_wait_kmcnt 0x0
	s_cmp_eq_u64 s[10:11], 0
	s_cbranch_scc1 .LBB20_3
; %bb.2:
	s_mul_u64 s[2:3], s[12:13], s[4:5]
	s_delay_alu instid0(SALU_CYCLE_1) | instskip(NEXT) | instid1(SALU_CYCLE_1)
	s_lshl_b64 s[2:3], s[2:3], 2
	s_add_nc_u64 s[52:53], s[10:11], s[2:3]
.LBB20_3:
	v_cmp_eq_u32_e64 s2, 0, v0
	s_and_saveexec_b32 s3, s2
; %bb.4:
	v_mov_b32_e32 v1, 0
	ds_store_b32 v1, v1
; %bb.5:
	s_or_b32 exec_lo, exec_lo, s3
	v_cmp_gt_u32_e32 vcc_lo, s44, v0
	s_cmp_lg_u64 s[52:53], 0
	s_cselect_b32 s6, -1, 0
	s_delay_alu instid0(SALU_CYCLE_1) | instskip(NEXT) | instid1(SALU_CYCLE_1)
	s_and_b32 s7, vcc_lo, s6
	s_and_saveexec_b32 s3, s7
	s_cbranch_execz .LBB20_13
; %bb.6:
	v_xad_u32 v1, v0, -1, s44
	v_mov_b32_e32 v2, v0
	s_mov_b32 s10, -1
	s_mov_b32 s7, exec_lo
	s_delay_alu instid0(VALU_DEP_2)
	v_cmpx_lt_u32_e32 0xff, v1
	s_cbranch_execz .LBB20_10
; %bb.7:
	v_dual_lshrrev_b32 v1, 8, v1 :: v_dual_mov_b32 v3, 0
	s_mov_b32 s10, 0
	s_delay_alu instid0(VALU_DEP_1) | instskip(SKIP_1) | instid1(VALU_DEP_2)
	v_add_nc_u32_e32 v6, 1, v1
	v_or_b32_e32 v1, 0x100, v0
	v_and_b32_e32 v7, 0x1fffffe, v6
	s_delay_alu instid0(VALU_DEP_2) | instskip(NEXT) | instid1(VALU_DEP_2)
	v_mov_b64_e32 v[4:5], v[0:1]
	v_mov_b32_e32 v8, v7
.LBB20_8:                               ; =>This Inner Loop Header: Depth=1
	s_delay_alu instid0(VALU_DEP_1) | instskip(SKIP_1) | instid1(VALU_DEP_2)
	v_dual_mov_b32 v2, v4 :: v_dual_add_nc_u32 v8, -2, v8
	v_add_nc_u32_e32 v4, 0x200, v4
	v_lshl_add_u64 v[10:11], v[2:3], 2, s[52:53]
	v_dual_mov_b32 v2, v5 :: v_dual_add_nc_u32 v5, 0x200, v5
	s_delay_alu instid0(VALU_DEP_4) | instskip(NEXT) | instid1(VALU_DEP_2)
	v_cmp_eq_u32_e32 vcc_lo, 0, v8
	v_lshl_add_u64 v[12:13], v[2:3], 2, s[52:53]
	s_clause 0x1
	global_store_b32 v[10:11], v3, off
	global_store_b32 v[12:13], v3, off
	s_or_b32 s10, vcc_lo, s10
	s_wait_xcnt 0x0
	s_and_not1_b32 exec_lo, exec_lo, s10
	s_cbranch_execnz .LBB20_8
; %bb.9:
	s_or_b32 exec_lo, exec_lo, s10
	v_cmp_ne_u32_e32 vcc_lo, v6, v7
	v_lshl_or_b32 v2, v7, 8, v0
	s_or_not1_b32 s10, vcc_lo, exec_lo
.LBB20_10:
	s_or_b32 exec_lo, exec_lo, s7
	s_delay_alu instid0(SALU_CYCLE_1)
	s_and_b32 exec_lo, exec_lo, s10
	s_cbranch_execz .LBB20_13
; %bb.11:
	v_mov_b32_e32 v3, 0
	s_mov_b32 s7, 0
	s_delay_alu instid0(VALU_DEP_1)
	v_lshl_add_u64 v[4:5], v[2:3], 2, s[52:53]
.LBB20_12:                              ; =>This Inner Loop Header: Depth=1
	v_add_nc_u32_e32 v2, 0x100, v2
	global_store_b32 v[4:5], v3, off
	s_wait_xcnt 0x0
	v_add_nc_u64_e32 v[4:5], 0x400, v[4:5]
	v_cmp_le_i32_e32 vcc_lo, s44, v2
	s_or_b32 s7, vcc_lo, s7
	s_delay_alu instid0(SALU_CYCLE_1)
	s_and_not1_b32 exec_lo, exec_lo, s7
	s_cbranch_execnz .LBB20_12
.LBB20_13:
	s_or_b32 exec_lo, exec_lo, s3
	s_load_b256 s[24:31], s[0:1], 0x48
	v_mov_b32_e32 v1, s44
	s_wait_kmcnt 0x0
	s_mul_u64 s[10:11], s[24:25], s[4:5]
	s_delay_alu instid0(SALU_CYCLE_1) | instskip(NEXT) | instid1(SALU_CYCLE_1)
	s_lshl_b64 s[10:11], s[10:11], 2
	s_add_nc_u64 s[12:13], s[50:51], s[10:11]
	global_load_b32 v24, v1, s[12:13] offset:-4 scale_offset
	s_wait_loadcnt 0x0
	v_cmp_gt_i32_e32 vcc_lo, 1, v24
	s_cbranch_vccnz .LBB20_258
; %bb.14:
	v_div_scale_f64 v[2:3], null, s[22:23], s[22:23], 1.0
	v_div_scale_f64 v[8:9], vcc_lo, 1.0, s[22:23], 1.0
	s_mul_u64 s[34:35], s[38:39], s[4:5]
	s_mul_u64 s[38:39], s[42:43], s[4:5]
	;; [unrolled: 1-line block ×4, first 2 shown]
	s_clause 0x1
	s_load_b32 s24, s[0:1], 0x0
	s_load_b64 s[28:29], s[0:1], 0x68
	s_mov_b32 s11, 0
	s_mul_u64 s[8:9], s[8:9], s[4:5]
	v_max_num_f64_e64 v[10:11], s[20:21], s[20:21]
	s_mov_b32 s45, s11
	s_and_b32 s33, s2, s6
	s_lshl_b64 s[6:7], s[34:35], 3
	s_lshl_b64 s[8:9], s[8:9], 3
	;; [unrolled: 1-line block ×3, first 2 shown]
	s_add_nc_u64 s[36:37], s[36:37], s[6:7]
	s_add_nc_u64 s[6:7], s[30:31], s[8:9]
	;; [unrolled: 1-line block ×3, first 2 shown]
	s_lshl_b64 s[34:35], s[38:39], 3
	v_writelane_b32 v62, s8, 2
	s_add_nc_u64 s[38:39], s[40:41], s[34:35]
	v_lshlrev_b32_e32 v1, 2, v0
	s_lshl_b64 s[48:49], s[48:49], 2
	s_lshl_b64 s[42:43], s[42:43], 3
	v_writelane_b32 v62, s9, 3
	s_wait_kmcnt 0x0
	s_mul_i32 s8, s24, 5
	s_ashr_i32 s25, s24, 31
	s_ashr_i32 s9, s8, 31
	s_mul_u64 s[30:31], s[24:25], s[4:5]
	s_mul_u64 s[8:9], s[8:9], s[4:5]
	v_rcp_f64_e32 v[4:5], v[2:3]
	s_lshl_b64 s[4:5], s[30:31], 2
	s_mul_i32 s62, s24, 3
	s_add_nc_u64 s[34:35], s[18:19], s[4:5]
	s_add_nc_u64 s[18:19], s[38:39], 8
	s_mov_b32 s10, s62
	v_writelane_b32 v62, s18, 4
	s_add_nc_u64 s[68:69], s[26:27], s[48:49]
	s_ashr_i32 s27, s28, 31
	s_mov_b32 s26, s28
	s_add_nc_u64 s[40:41], s[46:47], s[42:43]
	v_writelane_b32 v62, s19, 5
	s_add_nc_u64 s[18:19], s[36:37], 8
	s_lshl_b64 s[26:27], s[26:27], 3
	s_ashr_i32 s63, s62, 31
	s_add_nc_u64 s[46:47], s[6:7], s[26:27]
	v_writelane_b32 v62, s18, 6
	s_lshl_b64 s[6:7], s[8:9], 3
	s_lshl_b64 s[26:27], s[62:63], 3
	s_add_nc_u64 s[48:49], s[16:17], s[6:7]
	s_add_nc_u64 s[6:7], s[6:7], s[26:27]
	v_writelane_b32 v62, s19, 7
	s_lshl_b64 s[42:43], s[24:25], 4
	s_add_nc_u64 s[18:19], s[16:17], s[6:7]
	s_sub_nc_u64 s[50:51], 0, s[42:43]
	s_add_nc_u64 s[54:55], s[48:49], s[26:27]
	v_writelane_b32 v62, s10, 8
	v_mov_b64_e32 v[14:15], 1.0
	v_mov_b64_e32 v[16:17], 0
	s_lshl_b64 s[66:67], s[24:25], 3
	s_add_nc_u64 s[56:57], s[54:55], s[50:51]
	v_writelane_b32 v62, s11, 9
	s_add_nc_u64 s[8:9], s[8:9], s[62:63]
	v_cmp_gt_u32_e64 s0, 0x80, v0
	v_cmp_gt_u32_e64 s1, 64, v0
	;; [unrolled: 1-line block ×3, first 2 shown]
	v_writelane_b32 v62, s38, 10
	v_cmp_gt_i32_e64 s4, s24, v0
	v_fma_f64 v[6:7], -v[2:3], v[4:5], 1.0
	s_add_nc_u64 s[58:59], s[56:57], s[66:67]
	s_add_nc_u64 s[26:27], s[8:9], s[24:25]
	v_writelane_b32 v62, s39, 11
	s_lshl_b64 s[8:9], s[8:9], 3
	s_add_nc_u64 s[60:61], s[58:59], s[42:43]
	s_lshl_b32 s28, s24, 1
	s_sub_nc_u64 s[64:65], s[6:7], s[42:43]
	v_writelane_b32 v62, s68, 12
	s_lshl_b64 s[62:63], s[26:27], 3
	s_sub_nc_u64 s[70:71], s[8:9], s[66:67]
	s_add_nc_u64 s[72:73], s[6:7], 8
	s_add_nc_u64 s[74:75], s[18:19], 16
	s_mov_b64 s[78:79], 0x41dfffffff800000
	s_add_nc_u64 s[80:81], s[48:49], 8
	s_mov_b32 s82, s11
	s_mov_b32 s25, 0
                                        ; implicit-def: $vgpr32_vgpr33
                                        ; implicit-def: $vgpr20_vgpr21
                                        ; implicit-def: $vgpr22_vgpr23
                                        ; implicit-def: $sgpr85
                                        ; implicit-def: $vgpr18_vgpr19
	v_writelane_b32 v62, s69, 13
	v_mov_b32_e32 v52, 8
	v_fmac_f64_e32 v[4:5], v[4:5], v[6:7]
	s_delay_alu instid0(VALU_DEP_1) | instskip(NEXT) | instid1(VALU_DEP_1)
	v_fma_f64 v[6:7], -v[2:3], v[4:5], 1.0
	v_fmac_f64_e32 v[4:5], v[4:5], v[6:7]
	s_delay_alu instid0(VALU_DEP_1) | instskip(NEXT) | instid1(VALU_DEP_1)
	v_mul_f64_e32 v[6:7], v[8:9], v[4:5]
	v_dual_fma_f64 v[8:9], -v[2:3], v[6:7], v[8:9] :: v_dual_lshlrev_b32 v2, 3, v0
	s_delay_alu instid0(VALU_DEP_1) | instskip(NEXT) | instid1(VALU_DEP_2)
	v_dual_mov_b32 v3, 0 :: v_dual_add_nc_u32 v50, 8, v2
	v_div_fmas_f64 v[6:7], v[8:9], v[4:5], v[6:7]
	v_dual_max_num_f64 v[4:5], 0, v[10:11] :: v_dual_add_nc_u32 v8, s24, v0
	s_delay_alu instid0(VALU_DEP_3) | instskip(NEXT) | instid1(VALU_DEP_4)
	v_sub_nc_u32_e32 v51, v50, v1
	v_add_nc_u64_e32 v[10:11], s[18:19], v[2:3]
	s_delay_alu instid0(VALU_DEP_3) | instskip(NEXT) | instid1(VALU_DEP_1)
	v_ashrrev_i32_e32 v9, 31, v8
	v_lshl_add_u64 v[12:13], v[8:9], 3, s[48:49]
	v_add_nc_u64_e32 v[8:9], s[48:49], v[2:3]
	v_mov_b32_e32 v2, 1
	s_delay_alu instid0(VALU_DEP_3)
	v_add_nc_u64_e32 v[12:13], 8, v[12:13]
	v_div_fixup_f64 v[6:7], v[6:7], s[22:23], 1.0
	s_branch .LBB20_17
.LBB20_15:                              ;   in Loop: Header=BB20_17 Depth=1
	v_readlane_b32 s6, v62, 2
	v_readlane_b32 s7, v62, 3
	;; [unrolled: 1-line block ×6, first 2 shown]
	global_load_b32 v24, v3, s[6:7] offset:-4
	s_mov_b32 s25, s10
.LBB20_16:                              ;   in Loop: Header=BB20_17 Depth=1
	s_add_co_i32 s82, s82, 1
	s_wait_loadcnt 0x0
	v_cmp_ge_i32_e32 vcc_lo, s82, v24
	s_cbranch_vccnz .LBB20_258
.LBB20_17:                              ; =>This Loop Header: Depth=1
                                        ;     Child Loop BB20_22 Depth 2
                                        ;     Child Loop BB20_27 Depth 2
                                        ;       Child Loop BB20_37 Depth 3
                                        ;       Child Loop BB20_40 Depth 3
	;; [unrolled: 1-line block ×5, first 2 shown]
                                        ;         Child Loop BB20_112 Depth 4
                                        ;         Child Loop BB20_115 Depth 4
	;; [unrolled: 1-line block ×4, first 2 shown]
                                        ;           Child Loop BB20_131 Depth 5
                                        ;         Child Loop BB20_145 Depth 4
                                        ;           Child Loop BB20_146 Depth 5
                                        ;           Child Loop BB20_148 Depth 5
                                        ;         Child Loop BB20_153 Depth 4
                                        ;       Child Loop BB20_196 Depth 3
                                        ;       Child Loop BB20_235 Depth 3
	;; [unrolled: 1-line block ×4, first 2 shown]
	s_cmp_eq_u32 s82, 0
	s_wait_xcnt 0x0
	s_mov_b64 s[6:7], 0
	s_mov_b32 s84, s11
	s_cbranch_scc1 .LBB20_19
; %bb.18:                               ;   in Loop: Header=BB20_17 Depth=1
	v_mov_b32_e32 v25, s82
	s_mov_b32 s83, s11
	s_delay_alu instid0(SALU_CYCLE_1)
	s_mov_b64 s[6:7], s[82:83]
	global_load_b32 v25, v25, s[68:69] offset:-4 scale_offset
	s_wait_loadcnt 0x0
	v_readfirstlane_b32 s84, v25
.LBB20_19:                              ;   in Loop: Header=BB20_17 Depth=1
	s_lshl_b64 s[6:7], s[6:7], 2
	s_delay_alu instid0(VALU_DEP_1)
	s_not_b32 s5, s84
	s_add_nc_u64 s[6:7], s[68:69], s[6:7]
	global_load_b32 v25, v3, s[6:7]
	s_wait_loadcnt 0x0
	v_readfirstlane_b32 s86, v25
	v_subrev_nc_u32_e32 v53, s84, v25
	s_add_co_i32 s88, s5, s86
	s_delay_alu instid0(SALU_CYCLE_1) | instskip(SKIP_1) | instid1(SALU_CYCLE_1)
	s_cmp_lt_i32 s88, 1
	s_cselect_b32 s45, -1, 0
	s_and_b32 vcc_lo, exec_lo, s45
	s_cbranch_vccnz .LBB20_24
; %bb.20:                               ;   in Loop: Header=BB20_17 Depth=1
	v_dual_mov_b32 v20, s84 :: v_dual_mov_b32 v25, s86
	s_add_co_i32 s5, s86, -2
	s_clause 0x1
	global_load_b64 v[18:19], v20, s[36:37] scale_offset
	global_load_b64 v[20:21], v20, s[38:39] scale_offset
	s_clause 0x1
	global_load_b64 v[22:23], v25, s[36:37] offset:-8 scale_offset
	global_load_b64 v[26:27], v25, s[38:39] offset:-16 scale_offset
	s_cmp_ge_i32 s84, s5
	s_wait_loadcnt 0x2
	v_add_f64_e64 v[18:19], |v[18:19]|, |v[20:21]|
	s_wait_loadcnt 0x0
	v_add_f64_e64 v[22:23], |v[22:23]|, |v[26:27]|
	s_delay_alu instid0(VALU_DEP_1)
	v_cmp_lt_f64_e32 vcc_lo, v[18:19], v[22:23]
	v_dual_cndmask_b32 v19, v19, v23 :: v_dual_cndmask_b32 v18, v18, v22
	s_cbranch_scc1 .LBB20_23
; %bb.21:                               ;   in Loop: Header=BB20_17 Depth=1
	v_readlane_b32 s6, v62, 4
	v_readlane_b32 s18, v62, 6
	;; [unrolled: 1-line block ×4, first 2 shown]
	s_ashr_i32 s85, s84, 31
	s_mov_b32 s10, s84
	s_lshl_b64 s[8:9], s[84:85], 3
	s_delay_alu instid0(SALU_CYCLE_1)
	s_add_nc_u64 s[6:7], s[6:7], s[8:9]
	s_add_nc_u64 s[8:9], s[18:19], s[8:9]
.LBB20_22:                              ;   Parent Loop BB20_17 Depth=1
                                        ; =>  This Inner Loop Header: Depth=2
	global_load_b64 v[22:23], v3, s[8:9]
	s_add_co_i32 s10, s10, 1
	s_wait_xcnt 0x0
	s_add_nc_u64 s[8:9], s[8:9], 8
	s_cmp_lt_i32 s10, s5
	s_wait_loadcnt 0x0
	v_add_f64_e64 v[22:23], |v[20:21]|, |v[22:23]|
	global_load_b64 v[20:21], v3, s[6:7]
	s_wait_xcnt 0x0
	s_add_nc_u64 s[6:7], s[6:7], 8
	s_wait_loadcnt 0x0
	v_add_f64_e64 v[22:23], v[22:23], |v[20:21]|
	s_delay_alu instid0(VALU_DEP_1)
	v_cmp_lt_f64_e32 vcc_lo, v[18:19], v[22:23]
	v_dual_cndmask_b32 v19, v19, v23 :: v_dual_cndmask_b32 v18, v18, v22
	s_cbranch_scc1 .LBB20_22
.LBB20_23:                              ;   in Loop: Header=BB20_17 Depth=1
	s_wait_xcnt 0x2
	v_cvt_f64_u32_e32 v[20:21], v53
	s_mov_b64 s[6:7], 0x3fb999999999999a
	s_mov_b32 s85, s25
	s_delay_alu instid0(VALU_DEP_1) | instskip(SKIP_1) | instid1(VALU_DEP_2)
	v_div_scale_f64 v[22:23], null, v[20:21], v[20:21], s[6:7]
	v_div_scale_f64 v[30:31], vcc_lo, s[6:7], v[20:21], s[6:7]
	v_rcp_f64_e32 v[26:27], v[22:23]
	v_nop
	s_delay_alu instid0(TRANS32_DEP_1) | instskip(NEXT) | instid1(VALU_DEP_1)
	v_fma_f64 v[28:29], -v[22:23], v[26:27], 1.0
	v_fmac_f64_e32 v[26:27], v[26:27], v[28:29]
	s_delay_alu instid0(VALU_DEP_1) | instskip(NEXT) | instid1(VALU_DEP_1)
	v_fma_f64 v[28:29], -v[22:23], v[26:27], 1.0
	v_fmac_f64_e32 v[26:27], v[26:27], v[28:29]
	s_delay_alu instid0(VALU_DEP_1) | instskip(NEXT) | instid1(VALU_DEP_1)
	v_mul_f64_e32 v[28:29], v[30:31], v[26:27]
	v_fma_f64 v[22:23], -v[22:23], v[28:29], v[30:31]
	s_delay_alu instid0(VALU_DEP_1) | instskip(NEXT) | instid1(VALU_DEP_1)
	v_div_fmas_f64 v[22:23], v[22:23], v[26:27], v[28:29]
	v_div_fixup_f64 v[20:21], v[22:23], v[20:21], s[6:7]
	s_delay_alu instid0(VALU_DEP_1) | instskip(SKIP_2) | instid1(SALU_CYCLE_1)
	v_cmp_gt_f64_e32 vcc_lo, 0x10000000, v[20:21]
	s_and_b32 s5, vcc_lo, exec_lo
	s_cselect_b32 s5, 0x100, 0
	v_ldexp_f64 v[20:21], v[20:21], s5
	s_cselect_b32 s5, 0xffffff80, 0
	s_delay_alu instid0(VALU_DEP_1) | instskip(SKIP_1) | instid1(TRANS32_DEP_1)
	v_rsq_f64_e32 v[22:23], v[20:21]
	v_cmp_class_f64_e64 vcc_lo, v[20:21], 0x260
	v_mul_f64_e32 v[26:27], v[20:21], v[22:23]
	v_mul_f64_e32 v[22:23], 0.5, v[22:23]
	s_delay_alu instid0(VALU_DEP_1) | instskip(NEXT) | instid1(VALU_DEP_1)
	v_fma_f64 v[28:29], -v[22:23], v[26:27], 0.5
	v_fmac_f64_e32 v[26:27], v[26:27], v[28:29]
	v_fmac_f64_e32 v[22:23], v[22:23], v[28:29]
	s_delay_alu instid0(VALU_DEP_2) | instskip(NEXT) | instid1(VALU_DEP_1)
	v_fma_f64 v[28:29], -v[26:27], v[26:27], v[20:21]
	v_fmac_f64_e32 v[26:27], v[28:29], v[22:23]
	s_delay_alu instid0(VALU_DEP_1) | instskip(NEXT) | instid1(VALU_DEP_1)
	v_fma_f64 v[28:29], -v[26:27], v[26:27], v[20:21]
	v_fmac_f64_e32 v[26:27], v[28:29], v[22:23]
	v_mul_f64_e32 v[22:23], 0x3f50624dd2f1a9fc, v[18:19]
	s_delay_alu instid0(VALU_DEP_2) | instskip(NEXT) | instid1(VALU_DEP_1)
	v_ldexp_f64 v[26:27], v[26:27], s5
	v_dual_cndmask_b32 v21, v27, v21 :: v_dual_cndmask_b32 v20, v26, v20
.LBB20_24:                              ;   in Loop: Header=BB20_17 Depth=1
	s_cmp_ge_i32 s25, s44
	s_cbranch_scc1 .LBB20_16
; %bb.25:                               ;   in Loop: Header=BB20_17 Depth=1
	s_wait_xcnt 0x0
	v_cvt_f64_u32_e32 v[24:25], v53
	v_add_nc_u32_e32 v26, s84, v0
	v_readlane_b32 s18, v62, 8
	s_ashr_i32 s87, s86, 31
	v_readlane_b32 s19, v62, 9
	s_lshl_b64 s[8:9], s[86:87], 3
	s_mov_b32 s89, s11
	s_add_co_i32 s18, s88, s18
	s_add_nc_u64 s[90:91], s[36:37], s[8:9]
	s_ashr_i32 s19, s18, 31
	v_cmp_ge_i32_e64 s5, s88, v0
	s_lshl_b64 s[8:9], s[18:19], 3
	v_cmp_gt_i32_e64 s6, s88, v0
	s_add_nc_u64 s[92:93], s[48:49], s[8:9]
	s_lshl_b64 s[8:9], s[88:89], 2
	v_cmp_lt_u32_e64 s7, 2, v53
	s_add_nc_u64 s[94:95], s[34:35], s[8:9]
	s_lshl_b64 s[8:9], s[88:89], 3
	s_add_co_i32 s83, s88, -1
	s_add_nc_u64 s[96:97], s[54:55], s[8:9]
	v_cmp_lt_u32_e64 s8, v0, v53
	s_sub_co_i32 s87, s86, s84
	s_mov_b32 s104, 0
	s_sub_co_i32 s89, 0, s84
	s_mul_i32 vcc_hi, s29, s25
	s_mov_b32 s98, s25
	v_ashrrev_i32_e32 v27, 31, v26
	s_delay_alu instid0(VALU_DEP_1) | instskip(SKIP_1) | instid1(VALU_DEP_2)
	v_lshlrev_b64_e32 v[28:29], 3, v[26:27]
	v_mul_f64_e32 v[24:25], v[18:19], v[24:25]
	v_add_nc_u64_e32 v[26:27], s[36:37], v[28:29]
	v_add_nc_u64_e32 v[28:29], s[38:39], v[28:29]
	s_branch .LBB20_27
.LBB20_26:                              ;   in Loop: Header=BB20_27 Depth=2
	s_mov_b32 s10, s98
                                        ; implicit-def: $sgpr104
                                        ; implicit-def: $vcc_hi
	s_and_b32 vcc_lo, exec_lo, s9
	s_cbranch_vccnz .LBB20_15
.LBB20_27:                              ;   Parent Loop BB20_17 Depth=1
                                        ; =>  This Loop Header: Depth=2
                                        ;       Child Loop BB20_37 Depth 3
                                        ;       Child Loop BB20_40 Depth 3
	;; [unrolled: 1-line block ×5, first 2 shown]
                                        ;         Child Loop BB20_112 Depth 4
                                        ;         Child Loop BB20_115 Depth 4
	;; [unrolled: 1-line block ×4, first 2 shown]
                                        ;           Child Loop BB20_131 Depth 5
                                        ;         Child Loop BB20_145 Depth 4
                                        ;           Child Loop BB20_146 Depth 5
                                        ;           Child Loop BB20_148 Depth 5
                                        ;         Child Loop BB20_153 Depth 4
                                        ;       Child Loop BB20_196 Depth 3
                                        ;       Child Loop BB20_235 Depth 3
	;; [unrolled: 1-line block ×4, first 2 shown]
	v_mov_b32_e32 v30, s98
	s_mov_b32 s9, -1
	global_load_b32 v30, v30, s[12:13] scale_offset
	s_wait_loadcnt 0x0
	v_add_nc_u32_e32 v30, -1, v30
	s_delay_alu instid0(VALU_DEP_1)
	v_cmp_ne_u32_e32 vcc_lo, s82, v30
	s_cbranch_vccnz .LBB20_26
; %bb.28:                               ;   in Loop: Header=BB20_27 Depth=2
	s_ashr_i32 s99, s98, 31
	s_and_b32 vcc_lo, exec_lo, s45
	s_lshl_b64 s[18:19], s[98:99], 3
	s_delay_alu instid0(SALU_CYCLE_1)
	s_add_nc_u64 s[18:19], s[40:41], s[18:19]
	global_load_b64 v[30:31], v3, s[18:19]
	s_cbranch_vccz .LBB20_32
; %bb.29:                               ;   in Loop: Header=BB20_27 Depth=2
	s_wait_xcnt 0x0
	s_and_saveexec_b32 s9, s2
	s_cbranch_execz .LBB20_31
; %bb.30:                               ;   in Loop: Header=BB20_27 Depth=2
	global_store_b64 v3, v[14:15], s[48:49]
.LBB20_31:                              ;   in Loop: Header=BB20_27 Depth=2
	s_wait_xcnt 0x0
	s_or_b32 exec_lo, exec_lo, s9
	s_wait_storecnt 0x0
	s_wait_loadcnt_dscnt 0x0
	s_barrier_signal -1
	s_mov_b32 s9, 0
	s_barrier_wait -1
.LBB20_32:                              ;   in Loop: Header=BB20_27 Depth=2
	s_and_b32 vcc_lo, exec_lo, s9
	s_cbranch_vccz .LBB20_67
; %bb.33:                               ;   in Loop: Header=BB20_27 Depth=2
	s_cmp_lg_u32 s104, 0
	s_cselect_b32 s99, -1, 0
	s_cmp_eq_u32 s104, 0
	s_cbranch_scc1 .LBB20_35
; %bb.34:                               ;   in Loop: Header=BB20_27 Depth=2
	s_wait_loadcnt 0x0
	v_mul_f64_e32 v[34:35], s[20:21], v[30:31]
	v_add_f64_e64 v[38:39], v[30:31], -v[32:33]
	s_delay_alu instid0(VALU_DEP_2) | instskip(SKIP_1) | instid1(VALU_DEP_2)
	v_mul_f64_e64 v[36:37], 0x40240000, |v[34:35]|
	v_fma_f64 v[34:35], 0x40240000, |v[34:35]|, v[32:33]
	v_cmp_lt_f64_e32 vcc_lo, v[38:39], v[36:37]
	s_delay_alu instid0(VALU_DEP_2)
	v_dual_cndmask_b32 v31, v31, v35 :: v_dual_cndmask_b32 v30, v30, v34
.LBB20_35:                              ;   in Loop: Header=BB20_27 Depth=2
	s_wait_xcnt 0x0
	s_and_saveexec_b32 s9, s5
	s_cbranch_execz .LBB20_38
; %bb.36:                               ;   in Loop: Header=BB20_27 Depth=2
	s_mul_i32 s10, s82, s44
	s_delay_alu instid0(SALU_CYCLE_1) | instskip(NEXT) | instid1(SALU_CYCLE_1)
	s_add_co_i32 s10, s98, s10
	v_lshl_or_b32 v36, s10, 8, v0
	s_mov_b32 s10, 0
	s_delay_alu instid0(VALU_DEP_1) | instskip(SKIP_1) | instid1(VALU_DEP_2)
	v_add_nc_u32_e32 v34, 1, v36
	v_sub_nc_u32_e32 v38, 0x7ffffffe, v36
	v_mul_hi_i32 v35, 0x40000001, v34
	s_delay_alu instid0(VALU_DEP_2) | instskip(NEXT) | instid1(VALU_DEP_2)
	v_cmp_gt_u32_e32 vcc_lo, 0x7fffff07, v38
	v_dual_lshrrev_b32 v37, 31, v35 :: v_dual_ashrrev_i32 v35, 29, v35
	s_delay_alu instid0(VALU_DEP_1) | instskip(SKIP_1) | instid1(VALU_DEP_1)
	v_add_nc_u32_e32 v35, v35, v37
	v_sub_nc_u32_e32 v37, 0xf7, v36
	v_max_u32_e32 v37, 1, v37
	s_delay_alu instid0(VALU_DEP_1) | instskip(SKIP_1) | instid1(VALU_DEP_2)
	v_cndmask_b32_e32 v37, v37, v38, vcc_lo
	v_cmp_ne_u32_e32 vcc_lo, 0x7ffffffe, v36
	v_dual_mov_b32 v36, v0 :: v_dual_cndmask_b32 v37, 1, v37
	v_mul_lo_u32 v35, 0x7fffffff, v35
	s_delay_alu instid0(VALU_DEP_1) | instskip(SKIP_1) | instid1(VALU_DEP_2)
	v_sub_nc_u32_e32 v38, v34, v35
	v_mov_b64_e32 v[34:35], v[8:9]
	v_max_i32_e32 v38, 1, v38
.LBB20_37:                              ;   Parent Loop BB20_17 Depth=1
                                        ;     Parent Loop BB20_27 Depth=2
                                        ; =>    This Inner Loop Header: Depth=3
	s_delay_alu instid0(VALU_DEP_1) | instskip(SKIP_2) | instid1(VALU_DEP_3)
	v_mul_hi_i32 v39, 0x5e4789c9, v38
	v_mul_hi_i32 v40, 0x4f7a09cd, v37
	v_add_nc_u32_e32 v36, 0x100, v36
	v_dual_lshrrev_b32 v41, 31, v39 :: v_dual_ashrrev_i32 v39, 14, v39
	s_delay_alu instid0(VALU_DEP_3) | instskip(NEXT) | instid1(VALU_DEP_1)
	v_dual_lshrrev_b32 v42, 31, v40 :: v_dual_ashrrev_i32 v40, 14, v40
	v_dual_add_nc_u32 v39, v39, v41 :: v_dual_add_nc_u32 v40, v40, v42
	s_delay_alu instid0(VALU_DEP_1) | instskip(SKIP_1) | instid1(VALU_DEP_3)
	v_mul_i32_i24_e32 v41, 0xadc8, v39
	v_mul_i32_i24_e32 v39, 0xfffff2b9, v39
	;; [unrolled: 1-line block ×4, first 2 shown]
	s_delay_alu instid0(VALU_DEP_2) | instskip(NEXT) | instid1(VALU_DEP_1)
	v_dual_sub_nc_u32 v38, v38, v41 :: v_dual_sub_nc_u32 v37, v37, v42
	v_mad_u32 v38, 0xbc8f, v38, v39
	s_delay_alu instid0(VALU_DEP_2) | instskip(NEXT) | instid1(VALU_DEP_1)
	v_mad_u32 v37, 0x9ef4, v37, v40
	v_dual_ashrrev_i32 v39, 31, v38 :: v_dual_ashrrev_i32 v40, 31, v37
	s_delay_alu instid0(VALU_DEP_1) | instskip(NEXT) | instid1(VALU_DEP_2)
	v_and_b32_e32 v39, 0x7fffffff, v39
	v_and_b32_e32 v40, 0x7fffff07, v40
	s_delay_alu instid0(VALU_DEP_1) | instskip(NEXT) | instid1(VALU_DEP_1)
	v_dual_add_nc_u32 v38, v39, v38 :: v_dual_add_nc_u32 v37, v40, v37
	v_sub_nc_u32_e32 v39, v38, v37
	s_delay_alu instid0(VALU_DEP_1) | instskip(NEXT) | instid1(VALU_DEP_1)
	v_ashrrev_i32_e32 v40, 31, v39
	v_and_b32_e32 v40, 0x7fffffff, v40
	s_delay_alu instid0(VALU_DEP_1) | instskip(NEXT) | instid1(VALU_DEP_1)
	v_add_nc_u32_e32 v39, v40, v39
	v_cvt_f64_i32_e32 v[40:41], v39
	s_delay_alu instid0(VALU_DEP_1) | instskip(SKIP_1) | instid1(VALU_DEP_2)
	v_div_scale_f64 v[42:43], null, s[78:79], s[78:79], v[40:41]
	v_div_scale_f64 v[48:49], vcc_lo, v[40:41], s[78:79], v[40:41]
	v_rcp_f64_e32 v[44:45], v[42:43]
	v_nop
	s_delay_alu instid0(TRANS32_DEP_1) | instskip(NEXT) | instid1(VALU_DEP_1)
	v_fma_f64 v[46:47], -v[42:43], v[44:45], 1.0
	v_fmac_f64_e32 v[44:45], v[44:45], v[46:47]
	s_delay_alu instid0(VALU_DEP_1) | instskip(NEXT) | instid1(VALU_DEP_1)
	v_fma_f64 v[46:47], -v[42:43], v[44:45], 1.0
	v_fmac_f64_e32 v[44:45], v[44:45], v[46:47]
	s_delay_alu instid0(VALU_DEP_1) | instskip(NEXT) | instid1(VALU_DEP_1)
	v_mul_f64_e32 v[46:47], v[48:49], v[44:45]
	v_fma_f64 v[42:43], -v[42:43], v[46:47], v[48:49]
	s_delay_alu instid0(VALU_DEP_1) | instskip(SKIP_2) | instid1(VALU_DEP_2)
	v_div_fmas_f64 v[42:43], v[42:43], v[44:45], v[46:47]
	v_cmp_lt_i32_e32 vcc_lo, s88, v36
	s_or_b32 s10, vcc_lo, s10
	v_div_fixup_f64 v[40:41], v[42:43], s[78:79], v[40:41]
	global_store_b64 v[34:35], v[40:41], off
	s_wait_xcnt 0x0
	v_add_nc_u64_e32 v[34:35], 0x800, v[34:35]
	s_and_not1_b32 exec_lo, exec_lo, s10
	s_cbranch_execnz .LBB20_37
.LBB20_38:                              ;   in Loop: Header=BB20_27 Depth=2
	s_or_b32 exec_lo, exec_lo, s9
	s_and_saveexec_b32 s9, s6
	s_cbranch_execz .LBB20_41
; %bb.39:                               ;   in Loop: Header=BB20_27 Depth=2
	v_mov_b64_e32 v[34:35], v[28:29]
	v_mov_b64_e32 v[36:37], v[26:27]
	v_mov_b64_e32 v[38:39], v[12:13]
	v_mov_b64_e32 v[40:41], v[10:11]
	v_mov_b32_e32 v42, v0
	s_mov_b32 s10, 0
.LBB20_40:                              ;   Parent Loop BB20_17 Depth=1
                                        ;     Parent Loop BB20_27 Depth=2
                                        ; =>    This Inner Loop Header: Depth=3
	global_load_b64 v[44:45], v[36:37], off
	v_add_nc_u32_e32 v43, s28, v42
	v_add_nc_u32_e32 v42, 0x100, v42
	s_wait_xcnt 0x0
	v_add_nc_u64_e32 v[36:37], 0x800, v[36:37]
	s_delay_alu instid0(VALU_DEP_2)
	v_cmp_le_i32_e32 vcc_lo, s88, v42
	s_or_b32 s10, vcc_lo, s10
	s_wait_loadcnt 0x0
	global_store_b64 v[40:41], v[44:45], off
	global_load_b64 v[44:45], v[34:35], off
	v_add_nc_u64_e32 v[40:41], 0x800, v[40:41]
	s_wait_xcnt 0x0
	v_add_nc_u64_e32 v[34:35], 0x800, v[34:35]
	s_wait_loadcnt 0x0
	global_store_b64 v43, v[44:45], s[48:49] scale_offset
	global_store_b64 v[38:39], v[44:45], off
	s_wait_xcnt 0x0
	v_add_nc_u64_e32 v[38:39], 0x800, v[38:39]
	s_and_not1_b32 exec_lo, exec_lo, s10
	s_cbranch_execnz .LBB20_40
.LBB20_41:                              ;   in Loop: Header=BB20_27 Depth=2
	s_or_b32 exec_lo, exec_lo, s9
	s_and_saveexec_b32 s9, s2
	s_cbranch_execz .LBB20_43
; %bb.42:                               ;   in Loop: Header=BB20_27 Depth=2
	global_load_b64 v[34:35], v3, s[90:91] offset:-8
	s_wait_loadcnt 0x0
	global_store_b64 v3, v[34:35], s[92:93]
.LBB20_43:                              ;   in Loop: Header=BB20_27 Depth=2
	s_wait_xcnt 0x0
	s_or_b32 exec_lo, exec_lo, s9
	s_wait_storecnt 0x0
	s_wait_loadcnt_dscnt 0x0
	s_barrier_signal -1
	s_barrier_wait -1
	s_and_saveexec_b32 s9, s2
	s_cbranch_execz .LBB20_71
; %bb.44:                               ;   in Loop: Header=BB20_27 Depth=2
	global_load_b64 v[34:35], v3, s[54:55]
	s_mov_b32 s10, 1
	s_mov_b64 s[100:101], s[72:73]
	s_mov_b64 s[102:103], s[70:71]
	;; [unrolled: 1-line block ×5, first 2 shown]
	global_store_b32 v3, v3, s[94:95]
	s_wait_loadcnt 0x0
	v_add_f64_e64 v[34:35], v[34:35], -v[30:31]
	s_clause 0x1
	global_store_b64 v3, v[34:35], s[54:55]
	global_load_b64 v[36:37], v3, s[56:57] offset:8
	s_wait_loadcnt 0x0
	s_wait_xcnt 0x1
	v_add_f64_e64 v[34:35], |v[34:35]|, |v[36:37]|
	s_branch .LBB20_46
.LBB20_45:                              ;   in Loop: Header=BB20_46 Depth=3
	s_add_co_i32 s10, s10, 1
	s_add_nc_u64 s[66:67], s[66:67], 8
	s_add_nc_u64 s[68:69], s[68:69], 8
	s_wait_xcnt 0x0
	s_add_nc_u64 s[18:19], s[18:19], 4
	s_add_nc_u64 s[102:103], s[102:103], 8
	s_cmp_eq_u32 s87, s10
	s_add_nc_u64 s[100:101], s[100:101], 8
	s_cbranch_scc1 .LBB20_68
.LBB20_46:                              ;   Parent Loop BB20_17 Depth=1
                                        ;     Parent Loop BB20_27 Depth=2
                                        ; =>    This Inner Loop Header: Depth=3
	s_add_nc_u64 s[76:77], s[16:17], s[100:101]
	s_add_nc_u64 s[30:31], s[16:17], s[102:103]
	global_load_b64 v[36:37], v3, s[76:77]
	s_add_co_i32 s27, s10, -1
	s_add_nc_u64 s[42:43], s[16:17], s[66:67]
	s_cmp_lt_u32 s27, s83
	s_cselect_b32 s26, -1, 0
	s_cmp_ge_u32 s27, s83
	s_wait_loadcnt 0x0
	v_add_f64_e64 v[40:41], v[36:37], -v[30:31]
	s_clause 0x1
	global_store_b64 v3, v[40:41], s[76:77]
	global_load_b64 v[42:43], v3, s[30:31]
	s_wait_loadcnt 0x0
	v_add_f64_e64 v[36:37], |v[40:41]|, |v[42:43]|
	s_cbranch_scc1 .LBB20_48
; %bb.47:                               ;   in Loop: Header=BB20_46 Depth=3
	global_load_b64 v[38:39], v3, s[42:43] offset:16
	s_wait_loadcnt 0x0
	v_add_f64_e64 v[36:37], v[36:37], |v[38:39]|
.LBB20_48:                              ;   in Loop: Header=BB20_46 Depth=3
	global_load_b64 v[46:47], v3, s[76:77] offset:-8
	s_wait_loadcnt 0x0
	v_cmp_eq_f64_e32 vcc_lo, 0, v[46:47]
	s_cbranch_vccnz .LBB20_59
; %bb.49:                               ;   in Loop: Header=BB20_46 Depth=3
	v_and_b32_e32 v39, 0x7fffffff, v47
	v_mov_b32_e32 v38, v46
	s_delay_alu instid0(VALU_DEP_1) | instskip(SKIP_1) | instid1(VALU_DEP_2)
	v_div_scale_f64 v[44:45], null, v[34:35], v[34:35], v[38:39]
	v_div_scale_f64 v[38:39], vcc_lo, v[38:39], v[34:35], v[38:39]
	v_rcp_f64_e32 v[48:49], v[44:45]
	v_nop
	s_delay_alu instid0(TRANS32_DEP_1) | instskip(NEXT) | instid1(VALU_DEP_1)
	v_fma_f64 v[54:55], -v[44:45], v[48:49], 1.0
	v_fmac_f64_e32 v[48:49], v[48:49], v[54:55]
	s_delay_alu instid0(VALU_DEP_1) | instskip(NEXT) | instid1(VALU_DEP_1)
	v_fma_f64 v[54:55], -v[44:45], v[48:49], 1.0
	v_fmac_f64_e32 v[48:49], v[48:49], v[54:55]
	s_delay_alu instid0(VALU_DEP_1) | instskip(NEXT) | instid1(VALU_DEP_1)
	v_mul_f64_e32 v[54:55], v[38:39], v[48:49]
	v_fma_f64 v[38:39], -v[44:45], v[54:55], v[38:39]
	s_delay_alu instid0(VALU_DEP_1) | instskip(NEXT) | instid1(VALU_DEP_1)
	v_div_fmas_f64 v[38:39], v[38:39], v[48:49], v[54:55]
	v_div_fixup_f64 v[38:39], v[38:39], v[34:35], |v[46:47]|
	v_cmp_neq_f64_e32 vcc_lo, 0, v[42:43]
	s_cbranch_vccz .LBB20_60
.LBB20_50:                              ;   in Loop: Header=BB20_46 Depth=3
	v_and_b32_e32 v45, 0x7fffffff, v43
	v_mov_b32_e32 v44, v42
	s_mov_b32 s27, -1
	s_delay_alu instid0(VALU_DEP_1) | instskip(SKIP_1) | instid1(VALU_DEP_2)
	v_div_scale_f64 v[48:49], null, v[36:37], v[36:37], v[44:45]
	v_div_scale_f64 v[44:45], vcc_lo, v[44:45], v[36:37], v[44:45]
	v_rcp_f64_e32 v[54:55], v[48:49]
	v_nop
	s_delay_alu instid0(TRANS32_DEP_1) | instskip(NEXT) | instid1(VALU_DEP_1)
	v_fma_f64 v[56:57], -v[48:49], v[54:55], 1.0
	v_fmac_f64_e32 v[54:55], v[54:55], v[56:57]
	s_delay_alu instid0(VALU_DEP_1) | instskip(NEXT) | instid1(VALU_DEP_1)
	v_fma_f64 v[56:57], -v[48:49], v[54:55], 1.0
	v_fmac_f64_e32 v[54:55], v[54:55], v[56:57]
	s_delay_alu instid0(VALU_DEP_1) | instskip(NEXT) | instid1(VALU_DEP_1)
	v_mul_f64_e32 v[56:57], v[44:45], v[54:55]
	v_fma_f64 v[44:45], -v[48:49], v[56:57], v[44:45]
	s_delay_alu instid0(VALU_DEP_1) | instskip(NEXT) | instid1(VALU_DEP_1)
	v_div_fmas_f64 v[44:45], v[44:45], v[54:55], v[56:57]
	v_div_fixup_f64 v[44:45], v[44:45], v[36:37], |v[42:43]|
	s_delay_alu instid0(VALU_DEP_1)
	v_cmp_nle_f64_e32 vcc_lo, v[44:45], v[38:39]
	s_cbranch_vccnz .LBB20_54
; %bb.51:                               ;   in Loop: Header=BB20_46 Depth=3
	v_div_scale_f64 v[48:49], null, v[46:47], v[46:47], v[42:43]
	v_div_scale_f64 v[58:59], vcc_lo, v[42:43], v[46:47], v[42:43]
	s_delay_alu instid0(VALU_DEP_2) | instskip(SKIP_1) | instid1(TRANS32_DEP_1)
	v_rcp_f64_e32 v[54:55], v[48:49]
	v_nop
	v_fma_f64 v[56:57], -v[48:49], v[54:55], 1.0
	s_delay_alu instid0(VALU_DEP_1) | instskip(NEXT) | instid1(VALU_DEP_1)
	v_fmac_f64_e32 v[54:55], v[54:55], v[56:57]
	v_fma_f64 v[56:57], -v[48:49], v[54:55], 1.0
	s_delay_alu instid0(VALU_DEP_1) | instskip(NEXT) | instid1(VALU_DEP_1)
	v_fmac_f64_e32 v[54:55], v[54:55], v[56:57]
	v_mul_f64_e32 v[56:57], v[58:59], v[54:55]
	s_delay_alu instid0(VALU_DEP_1) | instskip(NEXT) | instid1(VALU_DEP_1)
	v_fma_f64 v[48:49], -v[48:49], v[56:57], v[58:59]
	v_div_fmas_f64 v[48:49], v[48:49], v[54:55], v[56:57]
	s_and_not1_b32 vcc_lo, exec_lo, s26
	s_delay_alu instid0(VALU_DEP_1)
	v_div_fixup_f64 v[48:49], v[48:49], v[46:47], v[42:43]
	s_clause 0x2
	global_store_b64 v3, v[48:49], s[30:31]
	global_load_b64 v[54:55], v3, s[76:77]
	global_load_b64 v[56:57], v3, s[42:43] offset:8
	s_wait_loadcnt 0x0
	s_wait_xcnt 0x2
	v_fma_f64 v[48:49], -v[48:49], v[56:57], v[54:55]
	s_clause 0x1
	global_store_b32 v3, v3, s[18:19]
	global_store_b64 v3, v[48:49], s[76:77]
	s_cbranch_vccnz .LBB20_53
; %bb.52:                               ;   in Loop: Header=BB20_46 Depth=3
	s_add_nc_u64 s[38:39], s[16:17], s[68:69]
	global_store_b64 v3, v[16:17], s[38:39]
.LBB20_53:                              ;   in Loop: Header=BB20_46 Depth=3
	s_mov_b32 s27, 0
.LBB20_54:                              ;   in Loop: Header=BB20_46 Depth=3
	s_wait_xcnt 0x0
	v_mov_b64_e32 v[48:49], v[36:37]
	s_and_not1_b32 vcc_lo, exec_lo, s27
	s_cbranch_vccnz .LBB20_58
; %bb.55:                               ;   in Loop: Header=BB20_46 Depth=3
	v_div_scale_f64 v[48:49], null, v[42:43], v[42:43], v[46:47]
	s_clause 0x1
	global_store_b64 v3, v[42:43], s[76:77] offset:-8
	global_load_b64 v[54:55], v3, s[42:43] offset:8
	v_rcp_f64_e32 v[56:57], v[48:49]
	v_nop
	s_delay_alu instid0(TRANS32_DEP_1) | instskip(NEXT) | instid1(VALU_DEP_1)
	v_fma_f64 v[58:59], -v[48:49], v[56:57], 1.0
	v_fmac_f64_e32 v[56:57], v[56:57], v[58:59]
	s_delay_alu instid0(VALU_DEP_1) | instskip(NEXT) | instid1(VALU_DEP_1)
	v_fma_f64 v[58:59], -v[48:49], v[56:57], 1.0
	v_fmac_f64_e32 v[56:57], v[56:57], v[58:59]
	v_div_scale_f64 v[58:59], vcc_lo, v[46:47], v[42:43], v[46:47]
	s_delay_alu instid0(VALU_DEP_1) | instskip(NEXT) | instid1(VALU_DEP_1)
	v_mul_f64_e32 v[60:61], v[58:59], v[56:57]
	v_fma_f64 v[48:49], -v[48:49], v[60:61], v[58:59]
	s_delay_alu instid0(VALU_DEP_1) | instskip(SKIP_2) | instid1(VALU_DEP_1)
	v_div_fmas_f64 v[48:49], v[48:49], v[56:57], v[60:61]
	s_and_not1_b32 vcc_lo, exec_lo, s26
	s_wait_xcnt 0x1
	v_div_fixup_f64 v[42:43], v[48:49], v[42:43], v[46:47]
	s_wait_loadcnt 0x0
	s_delay_alu instid0(VALU_DEP_1)
	v_fma_f64 v[46:47], -v[40:41], v[42:43], v[54:55]
	s_clause 0x1
	global_store_b32 v3, v2, s[18:19]
	global_store_b64 v3, v[46:47], s[76:77]
	s_cbranch_vccnz .LBB20_57
; %bb.56:                               ;   in Loop: Header=BB20_46 Depth=3
	global_load_b64 v[46:47], v3, s[42:43] offset:16
	s_add_nc_u64 s[38:39], s[16:17], s[68:69]
	s_wait_loadcnt 0x0
	v_mul_f64_e64 v[48:49], v[46:47], -v[42:43]
	s_clause 0x1
	global_store_b64 v3, v[46:47], s[38:39]
	global_store_b64 v3, v[48:49], s[42:43] offset:16
.LBB20_57:                              ;   in Loop: Header=BB20_46 Depth=3
	s_wait_xcnt 0x0
	v_mov_b64_e32 v[48:49], v[34:35]
	s_clause 0x1
	global_store_b64 v3, v[40:41], s[42:43] offset:8
	global_store_b64 v3, v[42:43], s[30:31]
.LBB20_58:                              ;   in Loop: Header=BB20_46 Depth=3
	s_delay_alu instid0(VALU_DEP_1)
	v_mov_b64_e32 v[34:35], v[48:49]
	s_cbranch_execz .LBB20_61
	s_branch .LBB20_64
.LBB20_59:                              ;   in Loop: Header=BB20_46 Depth=3
	v_mov_b64_e32 v[38:39], 0
	v_cmp_neq_f64_e32 vcc_lo, 0, v[42:43]
	s_cbranch_vccnz .LBB20_50
.LBB20_60:                              ;   in Loop: Header=BB20_46 Depth=3
                                        ; implicit-def: $vgpr44_vgpr45
                                        ; implicit-def: $vgpr34_vgpr35
.LBB20_61:                              ;   in Loop: Header=BB20_46 Depth=3
	s_and_not1_b32 vcc_lo, exec_lo, s26
	global_store_b32 v3, v3, s[18:19]
	s_cbranch_vccnz .LBB20_63
; %bb.62:                               ;   in Loop: Header=BB20_46 Depth=3
	s_add_nc_u64 s[26:27], s[16:17], s[68:69]
	global_store_b64 v3, v[16:17], s[26:27]
.LBB20_63:                              ;   in Loop: Header=BB20_46 Depth=3
	v_mov_b64_e32 v[44:45], 0
	v_mov_b64_e32 v[34:35], v[36:37]
.LBB20_64:                              ;   in Loop: Header=BB20_46 Depth=3
	s_delay_alu instid0(VALU_DEP_2) | instskip(SKIP_1) | instid1(VALU_DEP_1)
	v_max_num_f64_e32 v[36:37], v[44:45], v[44:45]
	v_max_num_f64_e32 v[38:39], v[38:39], v[38:39]
	;; [unrolled: 1-line block ×3, first 2 shown]
	s_delay_alu instid0(VALU_DEP_1)
	v_cmp_nle_f64_e32 vcc_lo, v[36:37], v[4:5]
	s_cbranch_vccnz .LBB20_45
; %bb.65:                               ;   in Loop: Header=BB20_46 Depth=3
	global_load_b32 v36, v3, s[94:95]
	s_wait_loadcnt 0x0
	v_cmp_ne_u32_e32 vcc_lo, 0, v36
	s_cbranch_vccnz .LBB20_45
; %bb.66:                               ;   in Loop: Header=BB20_46 Depth=3
	v_mov_b32_e32 v36, s10
	global_store_b32 v3, v36, s[94:95]
	s_branch .LBB20_45
.LBB20_67:                              ;   in Loop: Header=BB20_27 Depth=2
	s_wait_loadcnt 0x0
	v_mov_b64_e32 v[32:33], v[30:31]
	s_wait_storecnt_dscnt 0x0
	s_wait_xcnt 0x0
	s_and_saveexec_b32 s10, s4
	s_cbranch_execnz .LBB20_253
	s_branch .LBB20_257
.LBB20_68:                              ;   in Loop: Header=BB20_27 Depth=2
	global_load_b64 v[36:37], v3, s[96:97]
	v_mul_f64_e32 v[34:35], v[4:5], v[34:35]
	s_wait_loadcnt 0x0
	s_delay_alu instid0(VALU_DEP_1)
	v_cmp_le_f64_e64 s10, |v[36:37]|, v[34:35]
	s_and_b32 vcc_lo, exec_lo, s10
	s_cbranch_vccz .LBB20_71
; %bb.69:                               ;   in Loop: Header=BB20_27 Depth=2
	global_load_b32 v34, v3, s[94:95]
	s_wait_loadcnt 0x0
	v_cmp_ne_u32_e32 vcc_lo, 0, v34
	s_cbranch_vccnz .LBB20_71
; %bb.70:                               ;   in Loop: Header=BB20_27 Depth=2
	global_store_b32 v3, v53, s[94:95]
.LBB20_71:                              ;   in Loop: Header=BB20_27 Depth=2
	s_wait_xcnt 0x0
	s_or_b32 exec_lo, exec_lo, s9
	v_add_f64_e64 v[32:33], v[30:31], -v[32:33]
	s_mov_b32 s67, 0
	s_mov_b32 s68, 0
	s_delay_alu instid0(VALU_DEP_1)
	v_cmp_gt_f64_e64 s66, |v[32:33]|, v[22:23]
	v_mov_b64_e32 v[32:33], 0
	v_bfrev_b32_e32 v36, -2
	s_and_saveexec_b32 s10, s5
	s_cbranch_execz .LBB20_75
.LBB20_72:                              ;   in Loop: Header=BB20_27 Depth=2
	v_mov_b64_e32 v[32:33], 0
	v_mov_b64_e32 v[34:35], v[8:9]
	v_bfrev_b32_e32 v36, -2
	v_mov_b32_e32 v37, v0
	s_mov_b32 s18, 0
.LBB20_73:                              ;   Parent Loop BB20_17 Depth=1
                                        ;     Parent Loop BB20_27 Depth=2
                                        ; =>    This Inner Loop Header: Depth=3
	global_load_b64 v[38:39], v[34:35], off
	v_cmp_eq_u32_e32 vcc_lo, 0x7fffffff, v36
	s_wait_xcnt 0x0
	v_add_nc_u64_e32 v[34:35], 0x800, v[34:35]
	s_wait_loadcnt 0x0
	v_cmp_lt_f64_e64 s19, v[32:33], |v[38:39]|
	v_and_b32_e32 v39, 0x7fffffff, v39
	s_or_b32 vcc_lo, s19, vcc_lo
	s_delay_alu instid0(VALU_DEP_1) | instskip(SKIP_1) | instid1(VALU_DEP_2)
	v_dual_cndmask_b32 v33, v33, v39 :: v_dual_add_nc_u32 v40, 1, v37
	v_dual_cndmask_b32 v32, v32, v38 :: v_dual_add_nc_u32 v37, 0x100, v37
	v_cndmask_b32_e32 v36, v36, v40, vcc_lo
	s_delay_alu instid0(VALU_DEP_2) | instskip(SKIP_1) | instid1(SALU_CYCLE_1)
	v_cmp_lt_i32_e64 s9, s88, v37
	s_or_b32 s18, s9, s18
	s_and_not1_b32 exec_lo, exec_lo, s18
	s_cbranch_execnz .LBB20_73
; %bb.74:                               ;   in Loop: Header=BB20_27 Depth=2
	s_or_b32 exec_lo, exec_lo, s18
.LBB20_75:                              ;   Parent Loop BB20_17 Depth=1
                                        ;     Parent Loop BB20_27 Depth=2
                                        ; =>    This Loop Header: Depth=3
                                        ;         Child Loop BB20_112 Depth 4
                                        ;         Child Loop BB20_115 Depth 4
	;; [unrolled: 1-line block ×4, first 2 shown]
                                        ;           Child Loop BB20_131 Depth 5
                                        ;         Child Loop BB20_145 Depth 4
                                        ;           Child Loop BB20_146 Depth 5
                                        ;           Child Loop BB20_148 Depth 5
                                        ;         Child Loop BB20_153 Depth 4
	s_delay_alu instid0(SALU_CYCLE_1)
	s_or_b32 exec_lo, exec_lo, s10
	ds_store_b64 v50, v[32:33]
	ds_store_b32 v51, v36 offset:4096
	s_wait_storecnt_dscnt 0x0
	s_barrier_signal -1
	s_barrier_wait -1
	s_and_saveexec_b32 s10, s0
	s_cbranch_execz .LBB20_81
; %bb.76:                               ;   in Loop: Header=BB20_75 Depth=3
	ds_load_b64 v[34:35], v50 offset:1024
	ds_load_b32 v37, v51 offset:4608
	s_mov_b32 s19, exec_lo
	s_wait_dscnt 0x1
	v_cmp_lt_f64_e64 s18, v[32:33], v[34:35]
	v_cmpx_nlt_f64_e32 v[32:33], v[34:35]
	s_cbranch_execz .LBB20_78
; %bb.77:                               ;   in Loop: Header=BB20_75 Depth=3
	v_cmp_eq_f64_e32 vcc_lo, v[32:33], v[34:35]
	s_wait_dscnt 0x0
	v_cmp_gt_i32_e64 s9, v36, v37
	s_and_not1_b32 s18, s18, exec_lo
	s_and_b32 s9, vcc_lo, s9
	s_delay_alu instid0(SALU_CYCLE_1) | instskip(NEXT) | instid1(SALU_CYCLE_1)
	s_and_b32 s9, s9, exec_lo
	s_or_b32 s18, s18, s9
.LBB20_78:                              ;   in Loop: Header=BB20_75 Depth=3
	s_or_b32 exec_lo, exec_lo, s19
	s_and_saveexec_b32 s9, s18
	s_cbranch_execz .LBB20_80
; %bb.79:                               ;   in Loop: Header=BB20_75 Depth=3
	v_mov_b64_e32 v[32:33], v[34:35]
	s_wait_dscnt 0x0
	v_mov_b32_e32 v36, v37
	ds_store_b64 v50, v[34:35]
	ds_store_b32 v51, v37 offset:4096
.LBB20_80:                              ;   in Loop: Header=BB20_75 Depth=3
	s_or_b32 exec_lo, exec_lo, s9
.LBB20_81:                              ;   in Loop: Header=BB20_75 Depth=3
	s_delay_alu instid0(SALU_CYCLE_1)
	s_or_b32 exec_lo, exec_lo, s10
	s_wait_dscnt 0x0
	s_barrier_signal -1
	s_barrier_wait -1
	s_and_saveexec_b32 s10, s1
	s_cbranch_execz .LBB20_87
; %bb.82:                               ;   in Loop: Header=BB20_75 Depth=3
	ds_load_b64 v[34:35], v50 offset:512
	ds_load_b32 v37, v51 offset:4352
	s_mov_b32 s19, exec_lo
	s_wait_dscnt 0x1
	v_cmp_lt_f64_e64 s18, v[32:33], v[34:35]
	v_cmpx_nlt_f64_e32 v[32:33], v[34:35]
	s_cbranch_execz .LBB20_84
; %bb.83:                               ;   in Loop: Header=BB20_75 Depth=3
	v_cmp_eq_f64_e32 vcc_lo, v[32:33], v[34:35]
	s_wait_dscnt 0x0
	v_cmp_gt_i32_e64 s9, v36, v37
	s_and_not1_b32 s18, s18, exec_lo
	s_and_b32 s9, vcc_lo, s9
	s_delay_alu instid0(SALU_CYCLE_1) | instskip(NEXT) | instid1(SALU_CYCLE_1)
	s_and_b32 s9, s9, exec_lo
	s_or_b32 s18, s18, s9
.LBB20_84:                              ;   in Loop: Header=BB20_75 Depth=3
	s_or_b32 exec_lo, exec_lo, s19
	s_and_saveexec_b32 s9, s18
	s_cbranch_execz .LBB20_86
; %bb.85:                               ;   in Loop: Header=BB20_75 Depth=3
	v_mov_b64_e32 v[32:33], v[34:35]
	s_wait_dscnt 0x0
	v_mov_b32_e32 v36, v37
	ds_store_b64 v50, v[34:35]
	ds_store_b32 v51, v37 offset:4096
.LBB20_86:                              ;   in Loop: Header=BB20_75 Depth=3
	s_or_b32 exec_lo, exec_lo, s9
.LBB20_87:                              ;   in Loop: Header=BB20_75 Depth=3
	s_delay_alu instid0(SALU_CYCLE_1)
	s_or_b32 exec_lo, exec_lo, s10
	s_wait_dscnt 0x0
	s_barrier_signal -1
	s_barrier_wait -1
	s_and_saveexec_b32 s18, s3
	s_cbranch_execz .LBB20_110
; %bb.88:                               ;   in Loop: Header=BB20_75 Depth=3
	ds_load_b64 v[34:35], v50 offset:256
	ds_load_b32 v37, v51 offset:4224
	s_mov_b32 s19, exec_lo
	s_wait_dscnt 0x1
	v_cmp_lt_f64_e64 s10, v[32:33], v[34:35]
	v_cmpx_nlt_f64_e32 v[32:33], v[34:35]
	s_cbranch_execz .LBB20_90
; %bb.89:                               ;   in Loop: Header=BB20_75 Depth=3
	v_cmp_eq_f64_e32 vcc_lo, v[32:33], v[34:35]
	s_wait_dscnt 0x0
	v_cmp_gt_i32_e64 s9, v36, v37
	s_and_not1_b32 s10, s10, exec_lo
	s_and_b32 s9, vcc_lo, s9
	s_delay_alu instid0(SALU_CYCLE_1) | instskip(NEXT) | instid1(SALU_CYCLE_1)
	s_and_b32 s9, s9, exec_lo
	s_or_b32 s10, s10, s9
.LBB20_90:                              ;   in Loop: Header=BB20_75 Depth=3
	s_or_b32 exec_lo, exec_lo, s19
	s_and_saveexec_b32 s9, s10
	s_cbranch_execz .LBB20_92
; %bb.91:                               ;   in Loop: Header=BB20_75 Depth=3
	v_mov_b64_e32 v[32:33], v[34:35]
	s_wait_dscnt 0x0
	v_mov_b32_e32 v36, v37
	ds_store_b64 v50, v[34:35]
	ds_store_b32 v51, v37 offset:4096
.LBB20_92:                              ;   in Loop: Header=BB20_75 Depth=3
	s_or_b32 exec_lo, exec_lo, s9
	ds_load_b64 v[34:35], v50 offset:128
	s_wait_dscnt 0x1
	ds_load_b32 v37, v51 offset:4160
	s_mov_b32 s19, exec_lo
	s_wait_dscnt 0x1
	v_cmp_lt_f64_e64 s10, v[32:33], v[34:35]
	v_cmpx_nlt_f64_e32 v[32:33], v[34:35]
	s_cbranch_execz .LBB20_94
; %bb.93:                               ;   in Loop: Header=BB20_75 Depth=3
	v_cmp_eq_f64_e32 vcc_lo, v[32:33], v[34:35]
	s_wait_dscnt 0x0
	v_cmp_gt_i32_e64 s9, v36, v37
	s_and_not1_b32 s10, s10, exec_lo
	s_and_b32 s9, vcc_lo, s9
	s_delay_alu instid0(SALU_CYCLE_1) | instskip(NEXT) | instid1(SALU_CYCLE_1)
	s_and_b32 s9, s9, exec_lo
	s_or_b32 s10, s10, s9
.LBB20_94:                              ;   in Loop: Header=BB20_75 Depth=3
	s_or_b32 exec_lo, exec_lo, s19
	s_and_saveexec_b32 s9, s10
	s_cbranch_execz .LBB20_96
; %bb.95:                               ;   in Loop: Header=BB20_75 Depth=3
	v_mov_b64_e32 v[32:33], v[34:35]
	s_wait_dscnt 0x0
	v_mov_b32_e32 v36, v37
	ds_store_b64 v50, v[34:35]
	ds_store_b32 v51, v37 offset:4096
.LBB20_96:                              ;   in Loop: Header=BB20_75 Depth=3
	s_or_b32 exec_lo, exec_lo, s9
	ds_load_b64 v[34:35], v50 offset:64
	s_wait_dscnt 0x1
	ds_load_b32 v37, v51 offset:4128
	s_mov_b32 s19, exec_lo
	s_wait_dscnt 0x1
	v_cmp_lt_f64_e64 s10, v[32:33], v[34:35]
	v_cmpx_nlt_f64_e32 v[32:33], v[34:35]
	s_cbranch_execz .LBB20_98
; %bb.97:                               ;   in Loop: Header=BB20_75 Depth=3
	v_cmp_eq_f64_e32 vcc_lo, v[32:33], v[34:35]
	s_wait_dscnt 0x0
	v_cmp_gt_i32_e64 s9, v36, v37
	s_and_not1_b32 s10, s10, exec_lo
	s_and_b32 s9, vcc_lo, s9
	s_delay_alu instid0(SALU_CYCLE_1) | instskip(NEXT) | instid1(SALU_CYCLE_1)
	s_and_b32 s9, s9, exec_lo
	s_or_b32 s10, s10, s9
.LBB20_98:                              ;   in Loop: Header=BB20_75 Depth=3
	s_or_b32 exec_lo, exec_lo, s19
	s_and_saveexec_b32 s9, s10
	s_cbranch_execz .LBB20_100
; %bb.99:                               ;   in Loop: Header=BB20_75 Depth=3
	v_mov_b64_e32 v[32:33], v[34:35]
	s_wait_dscnt 0x0
	v_mov_b32_e32 v36, v37
	ds_store_b64 v50, v[34:35]
	ds_store_b32 v51, v37 offset:4096
.LBB20_100:                             ;   in Loop: Header=BB20_75 Depth=3
	s_or_b32 exec_lo, exec_lo, s9
	ds_load_b64 v[34:35], v50 offset:32
	s_wait_dscnt 0x1
	ds_load_b32 v37, v51 offset:4112
	s_mov_b32 s19, exec_lo
	s_wait_dscnt 0x1
	v_cmp_lt_f64_e64 s10, v[32:33], v[34:35]
	v_cmpx_nlt_f64_e32 v[32:33], v[34:35]
	s_cbranch_execz .LBB20_102
; %bb.101:                              ;   in Loop: Header=BB20_75 Depth=3
	v_cmp_eq_f64_e32 vcc_lo, v[32:33], v[34:35]
	s_wait_dscnt 0x0
	v_cmp_gt_i32_e64 s9, v36, v37
	s_and_not1_b32 s10, s10, exec_lo
	s_and_b32 s9, vcc_lo, s9
	s_delay_alu instid0(SALU_CYCLE_1) | instskip(NEXT) | instid1(SALU_CYCLE_1)
	s_and_b32 s9, s9, exec_lo
	s_or_b32 s10, s10, s9
.LBB20_102:                             ;   in Loop: Header=BB20_75 Depth=3
	s_or_b32 exec_lo, exec_lo, s19
	s_and_saveexec_b32 s9, s10
	s_cbranch_execz .LBB20_104
; %bb.103:                              ;   in Loop: Header=BB20_75 Depth=3
	v_mov_b64_e32 v[32:33], v[34:35]
	s_wait_dscnt 0x0
	v_mov_b32_e32 v36, v37
	ds_store_b64 v50, v[34:35]
	ds_store_b32 v51, v37 offset:4096
.LBB20_104:                             ;   in Loop: Header=BB20_75 Depth=3
	s_or_b32 exec_lo, exec_lo, s9
	ds_load_b64 v[34:35], v50 offset:16
	s_wait_dscnt 0x1
	ds_load_b32 v37, v51 offset:4104
	s_mov_b32 s19, exec_lo
	s_wait_dscnt 0x1
	v_cmp_lt_f64_e64 s10, v[32:33], v[34:35]
	v_cmpx_nlt_f64_e32 v[32:33], v[34:35]
	s_cbranch_execz .LBB20_106
; %bb.105:                              ;   in Loop: Header=BB20_75 Depth=3
	v_cmp_eq_f64_e32 vcc_lo, v[32:33], v[34:35]
	s_wait_dscnt 0x0
	v_cmp_gt_i32_e64 s9, v36, v37
	s_and_not1_b32 s10, s10, exec_lo
	s_and_b32 s9, vcc_lo, s9
	s_delay_alu instid0(SALU_CYCLE_1) | instskip(NEXT) | instid1(SALU_CYCLE_1)
	s_and_b32 s9, s9, exec_lo
	s_or_b32 s10, s10, s9
.LBB20_106:                             ;   in Loop: Header=BB20_75 Depth=3
	s_or_b32 exec_lo, exec_lo, s19
	s_and_saveexec_b32 s9, s10
	s_cbranch_execz .LBB20_108
; %bb.107:                              ;   in Loop: Header=BB20_75 Depth=3
	v_mov_b64_e32 v[32:33], v[34:35]
	s_wait_dscnt 0x0
	v_mov_b32_e32 v36, v37
	ds_store_b64 v50, v[34:35]
	ds_store_b32 v51, v37 offset:4096
.LBB20_108:                             ;   in Loop: Header=BB20_75 Depth=3
	s_or_b32 exec_lo, exec_lo, s9
	ds_load_b64 v[34:35], v50 offset:8
	s_wait_dscnt 0x0
	v_cmp_eq_f64_e32 vcc_lo, v[32:33], v[34:35]
	v_cmp_lt_f64_e64 s9, v[32:33], v[34:35]
	ds_load_b32 v32, v51 offset:4100
	s_wait_dscnt 0x0
	v_cmp_gt_i32_e64 s10, v36, v32
	s_and_b32 s10, vcc_lo, s10
	s_delay_alu instid0(SALU_CYCLE_1) | instskip(NEXT) | instid1(SALU_CYCLE_1)
	s_or_b32 s9, s9, s10
	s_and_b32 exec_lo, exec_lo, s9
	s_cbranch_execz .LBB20_110
; %bb.109:                              ;   in Loop: Header=BB20_75 Depth=3
	ds_store_b64 v50, v[34:35]
	ds_store_b32 v51, v32 offset:4096
.LBB20_110:                             ;   in Loop: Header=BB20_75 Depth=3
	s_or_b32 exec_lo, exec_lo, s18
	s_wait_dscnt 0x0
	s_barrier_signal -1
	s_barrier_wait -1
	s_and_saveexec_b32 s9, s5
	s_cbranch_execz .LBB20_113
; %bb.111:                              ;   in Loop: Header=BB20_75 Depth=3
	global_load_b64 v[32:33], v3, s[92:93]
	s_mov_b32 s10, 0
	s_wait_loadcnt 0x0
	v_cmp_lt_f64_e64 vcc_lo, s[20:21], |v[32:33]|
	v_and_b32_e32 v34, 0x7fffffff, v33
	s_delay_alu instid0(VALU_DEP_1) | instskip(SKIP_4) | instid1(VALU_DEP_1)
	v_cndmask_b32_e32 v33, s21, v34, vcc_lo
	v_cndmask_b32_e32 v32, s20, v32, vcc_lo
	ds_load_b64 v[34:35], v52
	v_mul_f64_e32 v[32:33], v[24:25], v[32:33]
	s_wait_dscnt 0x0
	v_div_scale_f64 v[36:37], null, v[34:35], v[34:35], v[32:33]
	s_delay_alu instid0(VALU_DEP_1) | instskip(SKIP_1) | instid1(TRANS32_DEP_1)
	v_rcp_f64_e32 v[38:39], v[36:37]
	v_nop
	v_fma_f64 v[40:41], -v[36:37], v[38:39], 1.0
	s_delay_alu instid0(VALU_DEP_1) | instskip(NEXT) | instid1(VALU_DEP_1)
	v_fmac_f64_e32 v[38:39], v[38:39], v[40:41]
	v_fma_f64 v[40:41], -v[36:37], v[38:39], 1.0
	s_delay_alu instid0(VALU_DEP_1) | instskip(SKIP_1) | instid1(VALU_DEP_1)
	v_fmac_f64_e32 v[38:39], v[38:39], v[40:41]
	v_div_scale_f64 v[40:41], vcc_lo, v[32:33], v[34:35], v[32:33]
	v_mul_f64_e32 v[42:43], v[40:41], v[38:39]
	s_delay_alu instid0(VALU_DEP_1) | instskip(NEXT) | instid1(VALU_DEP_1)
	v_fma_f64 v[36:37], -v[36:37], v[42:43], v[40:41]
	v_div_fmas_f64 v[36:37], v[36:37], v[38:39], v[42:43]
	s_delay_alu instid0(VALU_DEP_1)
	v_div_fixup_f64 v[32:33], v[36:37], v[34:35], v[32:33]
	v_mov_b64_e32 v[34:35], v[8:9]
	v_mov_b32_e32 v36, v0
.LBB20_112:                             ;   Parent Loop BB20_17 Depth=1
                                        ;     Parent Loop BB20_27 Depth=2
                                        ;       Parent Loop BB20_75 Depth=3
                                        ; =>      This Inner Loop Header: Depth=4
	global_load_b64 v[38:39], v[34:35], off
	v_add_nc_u32_e32 v36, 0x100, v36
	s_delay_alu instid0(VALU_DEP_1)
	v_cmp_lt_i32_e32 vcc_lo, s88, v36
	s_or_b32 s10, vcc_lo, s10
	s_wait_loadcnt 0x0
	v_mul_f64_e32 v[38:39], v[32:33], v[38:39]
	global_store_b64 v[34:35], v[38:39], off
	s_wait_xcnt 0x0
	v_add_nc_u64_e32 v[34:35], 0x800, v[34:35]
	s_and_not1_b32 exec_lo, exec_lo, s10
	s_cbranch_execnz .LBB20_112
.LBB20_113:                             ;   in Loop: Header=BB20_75 Depth=3
	s_or_b32 exec_lo, exec_lo, s9
	s_wait_storecnt 0x0
	s_barrier_signal -1
	s_barrier_wait -1
	s_and_saveexec_b32 s69, s2
	s_cbranch_execz .LBB20_141
; %bb.114:                              ;   in Loop: Header=BB20_75 Depth=3
	s_clause 0x1
	global_load_b128 v[32:35], v3, s[54:55]
	global_load_b64 v[36:37], v3, s[56:57] offset:8
	s_and_not1_b32 vcc_lo, exec_lo, s7
	s_mov_b64 s[18:19], s[60:61]
	s_mov_b64 s[30:31], s[74:75]
	s_mov_b32 s9, s83
	s_wait_loadcnt 0x1
	v_max_num_f64_e64 v[34:35], |v[34:35]|, |v[34:35]|
	s_wait_loadcnt 0x0
	v_max_num_f64_e64 v[36:37], |v[36:37]|, |v[36:37]|
	v_max_num_f64_e64 v[32:33], |v[32:33]|, |v[32:33]|
	s_delay_alu instid0(VALU_DEP_2) | instskip(NEXT) | instid1(VALU_DEP_1)
	v_max_num_f64_e32 v[34:35], v[34:35], v[36:37]
	v_max_num_f64_e32 v[32:33], v[32:33], v[34:35]
	s_cbranch_vccnz .LBB20_116
.LBB20_115:                             ;   Parent Loop BB20_17 Depth=1
                                        ;     Parent Loop BB20_27 Depth=2
                                        ;       Parent Loop BB20_75 Depth=3
                                        ; =>      This Inner Loop Header: Depth=4
	s_add_nc_u64 s[26:27], s[30:31], s[50:51]
	s_clause 0x2
	global_load_b64 v[34:35], v3, s[30:31]
	global_load_b64 v[36:37], v3, s[18:19]
	global_load_b64 v[38:39], v3, s[26:27]
	v_max_num_f64_e32 v[32:33], v[32:33], v[32:33]
	s_add_co_i32 s9, s9, -1
	s_wait_xcnt 0x2
	s_add_nc_u64 s[30:31], s[30:31], 8
	s_cmp_lg_u32 s9, 0
	s_wait_xcnt 0x1
	s_add_nc_u64 s[18:19], s[18:19], 8
	s_wait_loadcnt 0x2
	v_max_num_f64_e64 v[34:35], |v[34:35]|, |v[34:35]|
	s_wait_loadcnt 0x1
	v_max_num_f64_e64 v[36:37], |v[36:37]|, |v[36:37]|
	;; [unrolled: 2-line block ×3, first 2 shown]
	s_delay_alu instid0(VALU_DEP_3) | instskip(NEXT) | instid1(VALU_DEP_2)
	v_max_num_f64_e32 v[32:33], v[32:33], v[34:35]
	v_max_num_f64_e32 v[34:35], v[38:39], v[36:37]
	s_delay_alu instid0(VALU_DEP_1)
	v_max_num_f64_e32 v[32:33], v[32:33], v[34:35]
	s_cbranch_scc1 .LBB20_115
.LBB20_116:                             ;   in Loop: Header=BB20_75 Depth=3
	s_mov_b32 s9, s88
	s_mov_b64 s[18:19], s[34:35]
	s_mov_b64 s[30:31], s[58:59]
	;; [unrolled: 1-line block ×3, first 2 shown]
	s_branch .LBB20_118
.LBB20_117:                             ;   in Loop: Header=BB20_118 Depth=4
	s_add_co_i32 s9, s9, -1
	s_wait_xcnt 0x0
	s_add_nc_u64 s[42:43], s[42:43], 8
	s_add_nc_u64 s[30:31], s[30:31], 8
	s_cmp_lg_u32 s9, 0
	s_add_nc_u64 s[18:19], s[18:19], 4
	s_cbranch_scc0 .LBB20_122
.LBB20_118:                             ;   Parent Loop BB20_17 Depth=1
                                        ;     Parent Loop BB20_27 Depth=2
                                        ;       Parent Loop BB20_75 Depth=3
                                        ; =>      This Inner Loop Header: Depth=4
	global_load_b32 v34, v3, s[18:19]
	s_wait_loadcnt 0x0
	v_cmp_ne_u32_e32 vcc_lo, 0, v34
	s_cbranch_vccz .LBB20_120
; %bb.119:                              ;   in Loop: Header=BB20_118 Depth=4
	global_load_b128 v[34:37], v3, s[42:43] offset:-8
	s_wait_loadcnt 0x0
	s_clause 0x1
	global_store_b64 v3, v[36:37], s[42:43] offset:-8
	global_load_b64 v[38:39], v3, s[30:31]
	s_wait_loadcnt 0x0
	v_fma_f64 v[34:35], -v[36:37], v[38:39], v[34:35]
	global_store_b64 v3, v[34:35], s[42:43]
	s_cbranch_execnz .LBB20_117
	s_branch .LBB20_121
.LBB20_120:                             ;   in Loop: Header=BB20_118 Depth=4
.LBB20_121:                             ;   in Loop: Header=BB20_118 Depth=4
	s_clause 0x1
	global_load_b128 v[34:37], v3, s[42:43] offset:-8
	global_load_b64 v[38:39], v3, s[30:31]
	s_wait_loadcnt 0x0
	v_fma_f64 v[34:35], -v[38:39], v[34:35], v[36:37]
	global_store_b64 v3, v[34:35], s[42:43]
	s_branch .LBB20_117
.LBB20_122:                             ;   in Loop: Header=BB20_75 Depth=3
	v_mul_f64_e32 v[32:33], s[20:21], v[32:33]
	s_delay_alu instid0(VALU_DEP_1)
	v_cmp_eq_f64_e32 vcc_lo, 0, v[32:33]
	v_readfirstlane_b32 s9, v33
	v_readfirstlane_b32 s10, v32
	s_and_b32 s18, vcc_lo, exec_lo
	s_cselect_b32 s42, s21, s9
	s_cselect_b32 s43, s20, s10
	s_and_b32 s76, s42, 0x7fffffff
	s_mov_b32 s77, s43
	s_mov_b32 s10, s88
	s_branch .LBB20_125
.LBB20_123:                             ;   in Loop: Header=BB20_125 Depth=4
	s_delay_alu instid0(VALU_DEP_1)
	v_mov_b64_e32 v[34:35], v[42:43]
.LBB20_124:                             ;   in Loop: Header=BB20_125 Depth=4
	s_delay_alu instid0(VALU_DEP_1)
	v_div_scale_f64 v[36:37], null, v[34:35], v[34:35], v[32:33]
	s_add_co_i32 s9, s10, -1
	s_cmp_gt_i32 s10, 0
	s_mov_b32 s10, s9
	v_rcp_f64_e32 v[38:39], v[36:37]
	v_nop
	s_delay_alu instid0(TRANS32_DEP_1) | instskip(NEXT) | instid1(VALU_DEP_1)
	v_fma_f64 v[40:41], -v[36:37], v[38:39], 1.0
	v_fmac_f64_e32 v[38:39], v[38:39], v[40:41]
	s_delay_alu instid0(VALU_DEP_1) | instskip(NEXT) | instid1(VALU_DEP_1)
	v_fma_f64 v[40:41], -v[36:37], v[38:39], 1.0
	v_fmac_f64_e32 v[38:39], v[38:39], v[40:41]
	v_div_scale_f64 v[40:41], vcc_lo, v[32:33], v[34:35], v[32:33]
	s_delay_alu instid0(VALU_DEP_1) | instskip(NEXT) | instid1(VALU_DEP_1)
	v_mul_f64_e32 v[42:43], v[40:41], v[38:39]
	v_fma_f64 v[36:37], -v[36:37], v[42:43], v[40:41]
	s_delay_alu instid0(VALU_DEP_1) | instskip(SKIP_1) | instid1(VALU_DEP_1)
	v_div_fmas_f64 v[36:37], v[36:37], v[38:39], v[42:43]
	s_wait_xcnt 0x1
	v_div_fixup_f64 v[32:33], v[36:37], v[34:35], v[32:33]
	global_store_b64 v3, v[32:33], s[18:19]
	s_cbranch_scc0 .LBB20_141
.LBB20_125:                             ;   Parent Loop BB20_17 Depth=1
                                        ;     Parent Loop BB20_27 Depth=2
                                        ;       Parent Loop BB20_75 Depth=3
                                        ; =>      This Loop Header: Depth=4
                                        ;           Child Loop BB20_131 Depth 5
	s_wait_xcnt 0x0
	v_mov_b32_e32 v32, s10
	s_lshl_b64 s[30:31], s[10:11], 3
	s_cmp_ge_i32 s10, s88
	s_add_nc_u64 s[18:19], s[48:49], s[30:31]
	global_load_b64 v[32:33], v32, s[48:49] scale_offset
	s_cbranch_scc1 .LBB20_127
; %bb.126:                              ;   in Loop: Header=BB20_125 Depth=4
	s_add_nc_u64 s[26:27], s[56:57], s[30:31]
	s_clause 0x1
	global_load_b64 v[34:35], v3, s[26:27] offset:8
	global_load_b64 v[36:37], v3, s[18:19] offset:8
	s_wait_loadcnt 0x0
	s_wait_xcnt 0x2
	v_fma_f64 v[32:33], -v[34:35], v[36:37], v[32:33]
.LBB20_127:                             ;   in Loop: Header=BB20_125 Depth=4
	s_cmp_ge_i32 s10, s83
	s_cbranch_scc1 .LBB20_129
; %bb.128:                              ;   in Loop: Header=BB20_125 Depth=4
	s_wait_xcnt 0x1
	s_add_nc_u64 s[26:27], s[60:61], s[30:31]
	s_clause 0x1
	global_load_b64 v[34:35], v3, s[26:27]
	global_load_b64 v[36:37], v3, s[18:19] offset:16
	s_wait_loadcnt 0x0
	s_wait_xcnt 0x2
	v_fma_f64 v[32:33], -v[34:35], v[36:37], v[32:33]
.LBB20_129:                             ;   in Loop: Header=BB20_125 Depth=4
	s_wait_xcnt 0x1
	s_add_nc_u64 s[26:27], s[54:55], s[30:31]
	global_load_b64 v[34:35], v3, s[26:27]
	s_wait_loadcnt 0x0
	v_cmp_nlt_f64_e64 s9, |v[34:35]|, 1.0
	s_and_b32 vcc_lo, exec_lo, s9
	s_cbranch_vccnz .LBB20_124
; %bb.130:                              ;   in Loop: Header=BB20_125 Depth=4
	v_cmp_nle_f64_e32 vcc_lo, 0, v[34:35]
	v_mul_f64_e64 v[36:37], s[22:23], |v[32:33]|
	s_xor_b32 s9, s76, 0x80000000
	s_wait_xcnt 0x0
	s_and_b32 s26, s42, 0x7fffffff
	v_and_b32_e32 v41, 0x7fffffff, v35
	v_mov_b32_e32 v40, v34
	s_and_b32 s27, vcc_lo, exec_lo
	s_cselect_b32 s27, s9, s26
	s_cselect_b32 s26, s77, s43
	s_delay_alu instid0(SALU_CYCLE_1)
	v_mov_b64_e32 v[38:39], s[26:27]
.LBB20_131:                             ;   Parent Loop BB20_17 Depth=1
                                        ;     Parent Loop BB20_27 Depth=2
                                        ;       Parent Loop BB20_75 Depth=3
                                        ;         Parent Loop BB20_125 Depth=4
                                        ; =>        This Inner Loop Header: Depth=5
	v_cmp_ngt_f64_e32 vcc_lo, s[22:23], v[40:41]
	s_mov_b32 s9, -1
	s_mov_b32 s26, 0
	s_mov_b32 s27, -1
	s_cbranch_vccnz .LBB20_135
; %bb.132:                              ;   in Loop: Header=BB20_131 Depth=5
	s_and_not1_b32 vcc_lo, exec_lo, s27
	s_cbranch_vccz .LBB20_136
.LBB20_133:                             ;   in Loop: Header=BB20_131 Depth=5
	s_and_not1_b32 vcc_lo, exec_lo, s26
	s_cbranch_vccnz .LBB20_137
.LBB20_134:                             ;   in Loop: Header=BB20_131 Depth=5
	v_add_f64_e32 v[42:43], v[34:35], v[38:39]
	v_add_f64_e32 v[38:39], v[38:39], v[38:39]
	s_mov_b32 s9, -1
	s_delay_alu instid0(VALU_DEP_2)
	v_cmp_nlt_f64_e64 s26, |v[42:43]|, 1.0
	v_and_b32_e32 v41, 0x7fffffff, v43
	v_mov_b32_e32 v40, v42
	s_and_not1_b32 vcc_lo, exec_lo, s26
	s_cbranch_vccnz .LBB20_138
	s_branch .LBB20_139
.LBB20_135:                             ;   in Loop: Header=BB20_131 Depth=5
	v_mul_f64_e32 v[42:43], v[6:7], v[40:41]
	s_delay_alu instid0(VALU_DEP_1)
	v_cmp_gt_f64_e64 s26, |v[32:33]|, v[42:43]
	s_cbranch_execnz .LBB20_133
.LBB20_136:                             ;   in Loop: Header=BB20_131 Depth=5
	v_cmp_eq_f64_e32 vcc_lo, 0, v[34:35]
	v_cmp_gt_f64_e64 s9, v[36:37], v[40:41]
	s_or_b32 s26, vcc_lo, s9
	s_mov_b32 s9, 0
	s_and_not1_b32 vcc_lo, exec_lo, s26
	s_cbranch_vccz .LBB20_134
.LBB20_137:                             ;   in Loop: Header=BB20_125 Depth=4
	v_mov_b64_e32 v[42:43], v[34:35]
                                        ; implicit-def: $vgpr38_vgpr39
                                        ; implicit-def: $vgpr40_vgpr41
	s_branch .LBB20_139
.LBB20_138:                             ;   in Loop: Header=BB20_131 Depth=5
	v_mov_b64_e32 v[34:35], v[42:43]
	s_branch .LBB20_131
.LBB20_139:                             ;   in Loop: Header=BB20_125 Depth=4
	s_and_not1_b32 vcc_lo, exec_lo, s9
	s_cbranch_vccz .LBB20_123
; %bb.140:                              ;   in Loop: Header=BB20_125 Depth=4
	v_mul_f64_e32 v[32:33], v[6:7], v[32:33]
	v_mul_f64_e32 v[42:43], v[6:7], v[34:35]
	s_branch .LBB20_123
.LBB20_141:                             ;   in Loop: Header=BB20_75 Depth=3
	s_wait_xcnt 0x0
	s_or_b32 exec_lo, exec_lo, s69
	s_delay_alu instid0(SALU_CYCLE_1)
	s_and_not1_b32 vcc_lo, exec_lo, s99
	s_wait_storecnt 0x0
	s_barrier_signal -1
	s_barrier_wait -1
	s_cbranch_vccnz .LBB20_151
; %bb.142:                              ;   in Loop: Header=BB20_75 Depth=3
	s_and_b32 s9, s66, exec_lo
	s_cselect_b32 s9, s98, s85
	s_mov_b32 s85, s98
	s_cmp_eq_u32 s9, s98
	s_cbranch_scc1 .LBB20_151
; %bb.143:                              ;   in Loop: Header=BB20_75 Depth=3
	s_cmp_lt_i32 s9, s98
	s_cselect_b32 s10, -1, 0
	s_delay_alu instid0(SALU_CYCLE_1) | instskip(NEXT) | instid1(SALU_CYCLE_1)
	s_and_b32 s18, s2, s10
	s_and_saveexec_b32 s10, s18
	s_cbranch_execz .LBB20_150
; %bb.144:                              ;   in Loop: Header=BB20_75 Depth=3
	s_mul_i32 s18, s29, s9
	s_mov_b32 s27, s9
	s_add_co_i32 s26, s84, s18
.LBB20_145:                             ;   Parent Loop BB20_17 Depth=1
                                        ;     Parent Loop BB20_27 Depth=2
                                        ;       Parent Loop BB20_75 Depth=3
                                        ; =>      This Loop Header: Depth=4
                                        ;           Child Loop BB20_146 Depth 5
                                        ;           Child Loop BB20_148 Depth 5
	v_mov_b64_e32 v[32:33], 0
	s_mov_b64 s[18:19], s[48:49]
	s_mov_b32 s30, s26
	s_mov_b32 s31, s87
.LBB20_146:                             ;   Parent Loop BB20_17 Depth=1
                                        ;     Parent Loop BB20_27 Depth=2
                                        ;       Parent Loop BB20_75 Depth=3
                                        ;         Parent Loop BB20_145 Depth=4
                                        ; =>        This Inner Loop Header: Depth=5
	s_wait_xcnt 0x0
	v_mov_b32_e32 v36, s30
	s_add_co_i32 s31, s31, -1
	s_add_co_i32 s30, s30, 1
	s_cmp_lg_u32 s31, 0
	global_load_b64 v[34:35], v3, s[18:19]
	global_load_b64 v[36:37], v36, s[46:47] scale_offset
	s_wait_xcnt 0x1
	s_add_nc_u64 s[18:19], s[18:19], 8
	s_wait_loadcnt 0x0
	v_fmac_f64_e32 v[32:33], v[34:35], v[36:37]
	s_cbranch_scc1 .LBB20_146
; %bb.147:                              ;   in Loop: Header=BB20_145 Depth=4
	s_mov_b32 s30, 0
	s_mov_b64 s[18:19], s[48:49]
.LBB20_148:                             ;   Parent Loop BB20_17 Depth=1
                                        ;     Parent Loop BB20_27 Depth=2
                                        ;       Parent Loop BB20_75 Depth=3
                                        ;         Parent Loop BB20_145 Depth=4
                                        ; =>        This Inner Loop Header: Depth=5
	s_add_co_i32 s31, s26, s30
	s_add_co_i32 s30, s30, 1
	s_wait_xcnt 0x0
	v_mov_b32_e32 v36, s31
	s_cmp_lg_u32 s87, s30
	global_load_b64 v[34:35], v3, s[18:19]
	global_load_b64 v[36:37], v36, s[46:47] scale_offset
	s_wait_loadcnt 0x0
	v_fma_f64 v[34:35], -v[32:33], v[36:37], v[34:35]
	global_store_b64 v3, v[34:35], s[18:19]
	s_wait_xcnt 0x0
	s_add_nc_u64 s[18:19], s[18:19], 8
	s_cbranch_scc1 .LBB20_148
; %bb.149:                              ;   in Loop: Header=BB20_145 Depth=4
	s_add_co_i32 s27, s27, 1
	s_add_co_i32 s26, s26, s29
	s_cmp_lt_i32 s27, s98
	s_cbranch_scc1 .LBB20_145
.LBB20_150:                             ;   in Loop: Header=BB20_75 Depth=3
	s_or_b32 exec_lo, exec_lo, s10
	s_mov_b32 s85, s9
	s_wait_storecnt 0x0
	s_barrier_signal -1
	s_barrier_wait -1
.LBB20_151:                             ;   in Loop: Header=BB20_75 Depth=3
	v_mov_b64_e32 v[32:33], 0
	v_bfrev_b32_e32 v36, -2
	s_and_saveexec_b32 s10, s5
	s_cbranch_execz .LBB20_155
; %bb.152:                              ;   in Loop: Header=BB20_75 Depth=3
	v_mov_b64_e32 v[32:33], 0
	v_mov_b64_e32 v[34:35], v[8:9]
	v_bfrev_b32_e32 v36, -2
	v_mov_b32_e32 v37, v0
	s_mov_b32 s18, 0
.LBB20_153:                             ;   Parent Loop BB20_17 Depth=1
                                        ;     Parent Loop BB20_27 Depth=2
                                        ;       Parent Loop BB20_75 Depth=3
                                        ; =>      This Inner Loop Header: Depth=4
	global_load_b64 v[38:39], v[34:35], off
	v_cmp_eq_u32_e32 vcc_lo, 0x7fffffff, v36
	s_wait_xcnt 0x0
	v_add_nc_u64_e32 v[34:35], 0x800, v[34:35]
	s_wait_loadcnt 0x0
	v_cmp_lt_f64_e64 s19, v[32:33], |v[38:39]|
	v_and_b32_e32 v39, 0x7fffffff, v39
	s_or_b32 vcc_lo, s19, vcc_lo
	s_delay_alu instid0(VALU_DEP_1) | instskip(SKIP_1) | instid1(VALU_DEP_2)
	v_dual_cndmask_b32 v33, v33, v39 :: v_dual_add_nc_u32 v40, 1, v37
	v_dual_cndmask_b32 v32, v32, v38 :: v_dual_add_nc_u32 v37, 0x100, v37
	v_cndmask_b32_e32 v36, v36, v40, vcc_lo
	s_delay_alu instid0(VALU_DEP_2) | instskip(SKIP_1) | instid1(SALU_CYCLE_1)
	v_cmp_lt_i32_e64 s9, s88, v37
	s_or_b32 s18, s9, s18
	s_and_not1_b32 exec_lo, exec_lo, s18
	s_cbranch_execnz .LBB20_153
; %bb.154:                              ;   in Loop: Header=BB20_75 Depth=3
	s_or_b32 exec_lo, exec_lo, s18
.LBB20_155:                             ;   in Loop: Header=BB20_75 Depth=3
	s_delay_alu instid0(SALU_CYCLE_1)
	s_or_b32 exec_lo, exec_lo, s10
	ds_store_b64 v50, v[32:33]
	ds_store_b32 v51, v36 offset:4096
	s_wait_dscnt 0x0
	s_barrier_signal -1
	s_barrier_wait -1
	s_and_saveexec_b32 s10, s0
	s_cbranch_execz .LBB20_161
; %bb.156:                              ;   in Loop: Header=BB20_75 Depth=3
	ds_load_b64 v[34:35], v50 offset:1024
	ds_load_b32 v37, v51 offset:4608
	s_mov_b32 s19, exec_lo
	s_wait_dscnt 0x1
	v_cmp_lt_f64_e64 s18, v[32:33], v[34:35]
	v_cmpx_nlt_f64_e32 v[32:33], v[34:35]
	s_cbranch_execz .LBB20_158
; %bb.157:                              ;   in Loop: Header=BB20_75 Depth=3
	v_cmp_eq_f64_e32 vcc_lo, v[32:33], v[34:35]
	s_wait_dscnt 0x0
	v_cmp_gt_i32_e64 s9, v36, v37
	s_and_not1_b32 s18, s18, exec_lo
	s_and_b32 s9, vcc_lo, s9
	s_delay_alu instid0(SALU_CYCLE_1) | instskip(NEXT) | instid1(SALU_CYCLE_1)
	s_and_b32 s9, s9, exec_lo
	s_or_b32 s18, s18, s9
.LBB20_158:                             ;   in Loop: Header=BB20_75 Depth=3
	s_or_b32 exec_lo, exec_lo, s19
	s_and_saveexec_b32 s9, s18
	s_cbranch_execz .LBB20_160
; %bb.159:                              ;   in Loop: Header=BB20_75 Depth=3
	v_mov_b64_e32 v[32:33], v[34:35]
	s_wait_dscnt 0x0
	v_mov_b32_e32 v36, v37
	ds_store_b64 v50, v[34:35]
	ds_store_b32 v51, v37 offset:4096
.LBB20_160:                             ;   in Loop: Header=BB20_75 Depth=3
	s_or_b32 exec_lo, exec_lo, s9
.LBB20_161:                             ;   in Loop: Header=BB20_75 Depth=3
	s_delay_alu instid0(SALU_CYCLE_1)
	s_or_b32 exec_lo, exec_lo, s10
	s_wait_dscnt 0x0
	s_barrier_signal -1
	s_barrier_wait -1
	s_and_saveexec_b32 s10, s1
	s_cbranch_execz .LBB20_167
; %bb.162:                              ;   in Loop: Header=BB20_75 Depth=3
	ds_load_b64 v[34:35], v50 offset:512
	ds_load_b32 v37, v51 offset:4352
	s_mov_b32 s19, exec_lo
	s_wait_dscnt 0x1
	v_cmp_lt_f64_e64 s18, v[32:33], v[34:35]
	v_cmpx_nlt_f64_e32 v[32:33], v[34:35]
	s_cbranch_execz .LBB20_164
; %bb.163:                              ;   in Loop: Header=BB20_75 Depth=3
	v_cmp_eq_f64_e32 vcc_lo, v[32:33], v[34:35]
	s_wait_dscnt 0x0
	v_cmp_gt_i32_e64 s9, v36, v37
	s_and_not1_b32 s18, s18, exec_lo
	s_and_b32 s9, vcc_lo, s9
	s_delay_alu instid0(SALU_CYCLE_1) | instskip(NEXT) | instid1(SALU_CYCLE_1)
	s_and_b32 s9, s9, exec_lo
	s_or_b32 s18, s18, s9
.LBB20_164:                             ;   in Loop: Header=BB20_75 Depth=3
	s_or_b32 exec_lo, exec_lo, s19
	s_and_saveexec_b32 s9, s18
	s_cbranch_execz .LBB20_166
; %bb.165:                              ;   in Loop: Header=BB20_75 Depth=3
	v_mov_b64_e32 v[32:33], v[34:35]
	s_wait_dscnt 0x0
	v_mov_b32_e32 v36, v37
	ds_store_b64 v50, v[34:35]
	ds_store_b32 v51, v37 offset:4096
.LBB20_166:                             ;   in Loop: Header=BB20_75 Depth=3
	s_or_b32 exec_lo, exec_lo, s9
.LBB20_167:                             ;   in Loop: Header=BB20_75 Depth=3
	s_delay_alu instid0(SALU_CYCLE_1)
	s_or_b32 exec_lo, exec_lo, s10
	s_wait_dscnt 0x0
	s_barrier_signal -1
	s_barrier_wait -1
	s_and_saveexec_b32 s18, s3
	s_cbranch_execz .LBB20_190
; %bb.168:                              ;   in Loop: Header=BB20_75 Depth=3
	ds_load_b64 v[34:35], v50 offset:256
	ds_load_b32 v37, v51 offset:4224
	s_mov_b32 s19, exec_lo
	s_wait_dscnt 0x1
	v_cmp_lt_f64_e64 s10, v[32:33], v[34:35]
	v_cmpx_nlt_f64_e32 v[32:33], v[34:35]
	s_cbranch_execz .LBB20_170
; %bb.169:                              ;   in Loop: Header=BB20_75 Depth=3
	v_cmp_eq_f64_e32 vcc_lo, v[32:33], v[34:35]
	s_wait_dscnt 0x0
	v_cmp_gt_i32_e64 s9, v36, v37
	s_and_not1_b32 s10, s10, exec_lo
	s_and_b32 s9, vcc_lo, s9
	s_delay_alu instid0(SALU_CYCLE_1) | instskip(NEXT) | instid1(SALU_CYCLE_1)
	s_and_b32 s9, s9, exec_lo
	s_or_b32 s10, s10, s9
.LBB20_170:                             ;   in Loop: Header=BB20_75 Depth=3
	s_or_b32 exec_lo, exec_lo, s19
	s_and_saveexec_b32 s9, s10
	s_cbranch_execz .LBB20_172
; %bb.171:                              ;   in Loop: Header=BB20_75 Depth=3
	v_mov_b64_e32 v[32:33], v[34:35]
	s_wait_dscnt 0x0
	v_mov_b32_e32 v36, v37
	ds_store_b64 v50, v[34:35]
	ds_store_b32 v51, v37 offset:4096
.LBB20_172:                             ;   in Loop: Header=BB20_75 Depth=3
	s_or_b32 exec_lo, exec_lo, s9
	ds_load_b64 v[34:35], v50 offset:128
	s_wait_dscnt 0x1
	ds_load_b32 v37, v51 offset:4160
	s_mov_b32 s19, exec_lo
	s_wait_dscnt 0x1
	v_cmp_lt_f64_e64 s10, v[32:33], v[34:35]
	v_cmpx_nlt_f64_e32 v[32:33], v[34:35]
	s_cbranch_execz .LBB20_174
; %bb.173:                              ;   in Loop: Header=BB20_75 Depth=3
	v_cmp_eq_f64_e32 vcc_lo, v[32:33], v[34:35]
	s_wait_dscnt 0x0
	v_cmp_gt_i32_e64 s9, v36, v37
	s_and_not1_b32 s10, s10, exec_lo
	s_and_b32 s9, vcc_lo, s9
	s_delay_alu instid0(SALU_CYCLE_1) | instskip(NEXT) | instid1(SALU_CYCLE_1)
	s_and_b32 s9, s9, exec_lo
	s_or_b32 s10, s10, s9
.LBB20_174:                             ;   in Loop: Header=BB20_75 Depth=3
	s_or_b32 exec_lo, exec_lo, s19
	s_and_saveexec_b32 s9, s10
	s_cbranch_execz .LBB20_176
; %bb.175:                              ;   in Loop: Header=BB20_75 Depth=3
	v_mov_b64_e32 v[32:33], v[34:35]
	s_wait_dscnt 0x0
	v_mov_b32_e32 v36, v37
	ds_store_b64 v50, v[34:35]
	ds_store_b32 v51, v37 offset:4096
.LBB20_176:                             ;   in Loop: Header=BB20_75 Depth=3
	s_or_b32 exec_lo, exec_lo, s9
	ds_load_b64 v[34:35], v50 offset:64
	s_wait_dscnt 0x1
	;; [unrolled: 29-line block ×5, first 2 shown]
	v_cmp_eq_f64_e32 vcc_lo, v[32:33], v[34:35]
	v_cmp_lt_f64_e64 s9, v[32:33], v[34:35]
	ds_load_b32 v32, v51 offset:4100
	s_wait_dscnt 0x0
	v_cmp_gt_i32_e64 s10, v36, v32
	s_and_b32 s10, vcc_lo, s10
	s_delay_alu instid0(SALU_CYCLE_1) | instskip(NEXT) | instid1(SALU_CYCLE_1)
	s_or_b32 s9, s9, s10
	s_and_b32 exec_lo, exec_lo, s9
	s_cbranch_execz .LBB20_190
; %bb.189:                              ;   in Loop: Header=BB20_75 Depth=3
	ds_store_b64 v50, v[34:35]
	ds_store_b32 v51, v32 offset:4096
.LBB20_190:                             ;   in Loop: Header=BB20_75 Depth=3
	s_or_b32 exec_lo, exec_lo, s18
	s_wait_dscnt 0x0
	s_barrier_signal -1
	s_barrier_wait -1
	ds_load_b64 v[32:33], v52
	s_add_co_i32 s9, s68, 1
	s_wait_dscnt 0x0
	v_cmp_ge_f64_e32 vcc_lo, v[32:33], v[20:21]
	v_cndmask_b32_e64 v32, 0, 1, vcc_lo
	s_delay_alu instid0(VALU_DEP_1)
	v_readfirstlane_b32 s10, v32
	s_add_co_i32 s67, s67, s10
	s_cmp_lt_u32 s68, 4
	s_cselect_b32 s18, -1, 0
	s_cmp_lt_u32 s67, 2
	s_cselect_b32 s10, -1, 0
	s_delay_alu instid0(SALU_CYCLE_1) | instskip(NEXT) | instid1(SALU_CYCLE_1)
	s_and_b32 s18, s18, s10
	s_and_b32 vcc_lo, exec_lo, s18
	s_cbranch_vccz .LBB20_192
; %bb.191:                              ;   in Loop: Header=BB20_75 Depth=3
	s_mov_b32 s68, s9
	v_mov_b64_e32 v[32:33], 0
	v_bfrev_b32_e32 v36, -2
	s_and_saveexec_b32 s10, s5
	s_cbranch_execnz .LBB20_72
	s_branch .LBB20_75
.LBB20_192:                             ;   in Loop: Header=BB20_27 Depth=2
	s_and_b32 s10, s33, s10
	s_delay_alu instid0(SALU_CYCLE_1)
	s_and_saveexec_b32 s9, s10
	s_cbranch_execz .LBB20_194
; %bb.193:                              ;   in Loop: Header=BB20_27 Depth=2
	ds_load_b32 v32, v3
	s_add_co_i32 s10, s98, 1
	s_wait_dscnt 0x0
	v_dual_mov_b32 v33, s10 :: v_dual_add_nc_u32 v34, 1, v32
	global_store_b32 v32, v33, s[52:53] scale_offset
	ds_store_b32 v3, v34
.LBB20_194:                             ;   in Loop: Header=BB20_27 Depth=2
	s_wait_xcnt 0x0
	s_or_b32 exec_lo, exec_lo, s9
	v_mov_b64_e32 v[32:33], 0
	v_bfrev_b32_e32 v36, -2
	s_and_saveexec_b32 s10, s5
	s_cbranch_execz .LBB20_198
; %bb.195:                              ;   in Loop: Header=BB20_27 Depth=2
	v_mov_b64_e32 v[32:33], 0
	v_mov_b64_e32 v[34:35], v[8:9]
	v_bfrev_b32_e32 v36, -2
	v_mov_b32_e32 v37, v0
	s_mov_b32 s18, 0
.LBB20_196:                             ;   Parent Loop BB20_17 Depth=1
                                        ;     Parent Loop BB20_27 Depth=2
                                        ; =>    This Inner Loop Header: Depth=3
	global_load_b64 v[38:39], v[34:35], off
	v_cmp_eq_u32_e32 vcc_lo, 0x7fffffff, v36
	s_wait_xcnt 0x0
	v_add_nc_u64_e32 v[34:35], 0x800, v[34:35]
	s_wait_loadcnt 0x0
	v_cmp_lt_f64_e64 s19, v[32:33], |v[38:39]|
	v_and_b32_e32 v39, 0x7fffffff, v39
	s_or_b32 vcc_lo, s19, vcc_lo
	s_delay_alu instid0(VALU_DEP_1) | instskip(SKIP_1) | instid1(VALU_DEP_2)
	v_dual_cndmask_b32 v33, v33, v39 :: v_dual_add_nc_u32 v40, 1, v37
	v_dual_cndmask_b32 v32, v32, v38 :: v_dual_add_nc_u32 v37, 0x100, v37
	v_cndmask_b32_e32 v36, v36, v40, vcc_lo
	s_delay_alu instid0(VALU_DEP_2) | instskip(SKIP_1) | instid1(SALU_CYCLE_1)
	v_cmp_lt_i32_e64 s9, s88, v37
	s_or_b32 s18, s9, s18
	s_and_not1_b32 exec_lo, exec_lo, s18
	s_cbranch_execnz .LBB20_196
; %bb.197:                              ;   in Loop: Header=BB20_27 Depth=2
	s_or_b32 exec_lo, exec_lo, s18
.LBB20_198:                             ;   in Loop: Header=BB20_27 Depth=2
	s_delay_alu instid0(SALU_CYCLE_1)
	s_or_b32 exec_lo, exec_lo, s10
	ds_store_b64 v50, v[32:33]
	ds_store_b32 v51, v36 offset:4096
	s_wait_storecnt_dscnt 0x0
	s_barrier_signal -1
	s_barrier_wait -1
	s_and_saveexec_b32 s10, s0
	s_cbranch_execz .LBB20_204
; %bb.199:                              ;   in Loop: Header=BB20_27 Depth=2
	ds_load_b64 v[34:35], v50 offset:1024
	ds_load_b32 v37, v51 offset:4608
	s_mov_b32 s19, exec_lo
	s_wait_dscnt 0x1
	v_cmp_lt_f64_e64 s18, v[32:33], v[34:35]
	v_cmpx_nlt_f64_e32 v[32:33], v[34:35]
	s_cbranch_execz .LBB20_201
; %bb.200:                              ;   in Loop: Header=BB20_27 Depth=2
	v_cmp_eq_f64_e32 vcc_lo, v[32:33], v[34:35]
	s_wait_dscnt 0x0
	v_cmp_gt_i32_e64 s9, v36, v37
	s_and_not1_b32 s18, s18, exec_lo
	s_and_b32 s9, vcc_lo, s9
	s_delay_alu instid0(SALU_CYCLE_1) | instskip(NEXT) | instid1(SALU_CYCLE_1)
	s_and_b32 s9, s9, exec_lo
	s_or_b32 s18, s18, s9
.LBB20_201:                             ;   in Loop: Header=BB20_27 Depth=2
	s_or_b32 exec_lo, exec_lo, s19
	s_and_saveexec_b32 s9, s18
	s_cbranch_execz .LBB20_203
; %bb.202:                              ;   in Loop: Header=BB20_27 Depth=2
	v_mov_b64_e32 v[32:33], v[34:35]
	s_wait_dscnt 0x0
	v_mov_b32_e32 v36, v37
	ds_store_b64 v50, v[34:35]
	ds_store_b32 v51, v37 offset:4096
.LBB20_203:                             ;   in Loop: Header=BB20_27 Depth=2
	s_or_b32 exec_lo, exec_lo, s9
.LBB20_204:                             ;   in Loop: Header=BB20_27 Depth=2
	s_delay_alu instid0(SALU_CYCLE_1)
	s_or_b32 exec_lo, exec_lo, s10
	s_wait_dscnt 0x0
	s_barrier_signal -1
	s_barrier_wait -1
	s_and_saveexec_b32 s10, s1
	s_cbranch_execz .LBB20_210
; %bb.205:                              ;   in Loop: Header=BB20_27 Depth=2
	ds_load_b64 v[34:35], v50 offset:512
	ds_load_b32 v37, v51 offset:4352
	s_mov_b32 s19, exec_lo
	s_wait_dscnt 0x1
	v_cmp_lt_f64_e64 s18, v[32:33], v[34:35]
	v_cmpx_nlt_f64_e32 v[32:33], v[34:35]
	s_cbranch_execz .LBB20_207
; %bb.206:                              ;   in Loop: Header=BB20_27 Depth=2
	v_cmp_eq_f64_e32 vcc_lo, v[32:33], v[34:35]
	s_wait_dscnt 0x0
	v_cmp_gt_i32_e64 s9, v36, v37
	s_and_not1_b32 s18, s18, exec_lo
	s_and_b32 s9, vcc_lo, s9
	s_delay_alu instid0(SALU_CYCLE_1) | instskip(NEXT) | instid1(SALU_CYCLE_1)
	s_and_b32 s9, s9, exec_lo
	s_or_b32 s18, s18, s9
.LBB20_207:                             ;   in Loop: Header=BB20_27 Depth=2
	s_or_b32 exec_lo, exec_lo, s19
	s_and_saveexec_b32 s9, s18
	s_cbranch_execz .LBB20_209
; %bb.208:                              ;   in Loop: Header=BB20_27 Depth=2
	v_mov_b64_e32 v[32:33], v[34:35]
	s_wait_dscnt 0x0
	v_mov_b32_e32 v36, v37
	ds_store_b64 v50, v[34:35]
	ds_store_b32 v51, v37 offset:4096
.LBB20_209:                             ;   in Loop: Header=BB20_27 Depth=2
	s_or_b32 exec_lo, exec_lo, s9
.LBB20_210:                             ;   in Loop: Header=BB20_27 Depth=2
	s_delay_alu instid0(SALU_CYCLE_1)
	s_or_b32 exec_lo, exec_lo, s10
	s_wait_dscnt 0x0
	s_barrier_signal -1
	s_barrier_wait -1
	s_and_saveexec_b32 s18, s3
	s_cbranch_execz .LBB20_233
; %bb.211:                              ;   in Loop: Header=BB20_27 Depth=2
	ds_load_b64 v[34:35], v50 offset:256
	ds_load_b32 v37, v51 offset:4224
	s_mov_b32 s19, exec_lo
	s_wait_dscnt 0x1
	v_cmp_lt_f64_e64 s10, v[32:33], v[34:35]
	v_cmpx_nlt_f64_e32 v[32:33], v[34:35]
	s_cbranch_execz .LBB20_213
; %bb.212:                              ;   in Loop: Header=BB20_27 Depth=2
	v_cmp_eq_f64_e32 vcc_lo, v[32:33], v[34:35]
	s_wait_dscnt 0x0
	v_cmp_gt_i32_e64 s9, v36, v37
	s_and_not1_b32 s10, s10, exec_lo
	s_and_b32 s9, vcc_lo, s9
	s_delay_alu instid0(SALU_CYCLE_1) | instskip(NEXT) | instid1(SALU_CYCLE_1)
	s_and_b32 s9, s9, exec_lo
	s_or_b32 s10, s10, s9
.LBB20_213:                             ;   in Loop: Header=BB20_27 Depth=2
	s_or_b32 exec_lo, exec_lo, s19
	s_and_saveexec_b32 s9, s10
	s_cbranch_execz .LBB20_215
; %bb.214:                              ;   in Loop: Header=BB20_27 Depth=2
	v_mov_b64_e32 v[32:33], v[34:35]
	s_wait_dscnt 0x0
	v_mov_b32_e32 v36, v37
	ds_store_b64 v50, v[34:35]
	ds_store_b32 v51, v37 offset:4096
.LBB20_215:                             ;   in Loop: Header=BB20_27 Depth=2
	s_or_b32 exec_lo, exec_lo, s9
	ds_load_b64 v[34:35], v50 offset:128
	s_wait_dscnt 0x1
	ds_load_b32 v37, v51 offset:4160
	s_mov_b32 s19, exec_lo
	s_wait_dscnt 0x1
	v_cmp_lt_f64_e64 s10, v[32:33], v[34:35]
	v_cmpx_nlt_f64_e32 v[32:33], v[34:35]
	s_cbranch_execz .LBB20_217
; %bb.216:                              ;   in Loop: Header=BB20_27 Depth=2
	v_cmp_eq_f64_e32 vcc_lo, v[32:33], v[34:35]
	s_wait_dscnt 0x0
	v_cmp_gt_i32_e64 s9, v36, v37
	s_and_not1_b32 s10, s10, exec_lo
	s_and_b32 s9, vcc_lo, s9
	s_delay_alu instid0(SALU_CYCLE_1) | instskip(NEXT) | instid1(SALU_CYCLE_1)
	s_and_b32 s9, s9, exec_lo
	s_or_b32 s10, s10, s9
.LBB20_217:                             ;   in Loop: Header=BB20_27 Depth=2
	s_or_b32 exec_lo, exec_lo, s19
	s_and_saveexec_b32 s9, s10
	s_cbranch_execz .LBB20_219
; %bb.218:                              ;   in Loop: Header=BB20_27 Depth=2
	v_mov_b64_e32 v[32:33], v[34:35]
	s_wait_dscnt 0x0
	v_mov_b32_e32 v36, v37
	ds_store_b64 v50, v[34:35]
	ds_store_b32 v51, v37 offset:4096
.LBB20_219:                             ;   in Loop: Header=BB20_27 Depth=2
	s_or_b32 exec_lo, exec_lo, s9
	ds_load_b64 v[34:35], v50 offset:64
	s_wait_dscnt 0x1
	;; [unrolled: 29-line block ×5, first 2 shown]
	v_cmp_eq_f64_e32 vcc_lo, v[32:33], v[34:35]
	v_cmp_lt_f64_e64 s9, v[32:33], v[34:35]
	ds_load_b32 v32, v51 offset:4100
	s_wait_dscnt 0x0
	v_cmp_gt_i32_e64 s10, v36, v32
	s_and_b32 s10, vcc_lo, s10
	s_delay_alu instid0(SALU_CYCLE_1) | instskip(NEXT) | instid1(SALU_CYCLE_1)
	s_or_b32 s9, s9, s10
	s_and_b32 exec_lo, exec_lo, s9
	s_cbranch_execz .LBB20_233
; %bb.232:                              ;   in Loop: Header=BB20_27 Depth=2
	ds_store_b64 v50, v[34:35]
	ds_store_b32 v51, v32 offset:4096
.LBB20_233:                             ;   in Loop: Header=BB20_27 Depth=2
	s_or_b32 exec_lo, exec_lo, s18
	v_mov_b64_e32 v[32:33], 0
	s_and_saveexec_b32 s9, s8
	s_cbranch_execz .LBB20_237
; %bb.234:                              ;   in Loop: Header=BB20_27 Depth=2
	v_mov_b64_e32 v[32:33], 0
	v_mov_b64_e32 v[34:35], v[8:9]
	v_mov_b32_e32 v36, v0
	s_mov_b32 s10, 0
.LBB20_235:                             ;   Parent Loop BB20_17 Depth=1
                                        ;     Parent Loop BB20_27 Depth=2
                                        ; =>    This Inner Loop Header: Depth=3
	global_load_b64 v[38:39], v[34:35], off
	v_add_nc_u32_e32 v36, 0x100, v36
	s_wait_xcnt 0x0
	v_add_nc_u64_e32 v[34:35], 0x800, v[34:35]
	s_delay_alu instid0(VALU_DEP_2)
	v_cmp_ge_u32_e32 vcc_lo, v36, v53
	s_or_b32 s10, vcc_lo, s10
	s_wait_loadcnt 0x0
	v_fmac_f64_e32 v[32:33], v[38:39], v[38:39]
	s_and_not1_b32 exec_lo, exec_lo, s10
	s_cbranch_execnz .LBB20_235
; %bb.236:                              ;   in Loop: Header=BB20_27 Depth=2
	s_or_b32 exec_lo, exec_lo, s10
.LBB20_237:                             ;   in Loop: Header=BB20_27 Depth=2
	s_delay_alu instid0(SALU_CYCLE_1)
	s_or_b32 exec_lo, exec_lo, s9
	v_add_nc_u32_e32 v34, v51, v1
	ds_store_b64 v34, v[32:33] offset:2048
	s_wait_dscnt 0x0
	s_barrier_signal -1
	s_barrier_wait -1
	s_and_saveexec_b32 s9, s0
	s_cbranch_execz .LBB20_239
; %bb.238:                              ;   in Loop: Header=BB20_27 Depth=2
	ds_load_b64 v[36:37], v34 offset:3072
	s_wait_dscnt 0x0
	v_add_f64_e32 v[32:33], v[32:33], v[36:37]
.LBB20_239:                             ;   in Loop: Header=BB20_27 Depth=2
	s_or_b32 exec_lo, exec_lo, s9
	s_barrier_signal -1
	s_barrier_wait -1
	s_and_saveexec_b32 s9, s0
; %bb.240:                              ;   in Loop: Header=BB20_27 Depth=2
	ds_store_b64 v34, v[32:33] offset:2048
; %bb.241:                              ;   in Loop: Header=BB20_27 Depth=2
	s_or_b32 exec_lo, exec_lo, s9
	s_wait_dscnt 0x0
	s_barrier_signal -1
	s_barrier_wait -1
	s_and_saveexec_b32 s9, s1
	s_cbranch_execz .LBB20_243
; %bb.242:                              ;   in Loop: Header=BB20_27 Depth=2
	ds_load_b64 v[36:37], v34 offset:2560
	s_wait_dscnt 0x0
	v_add_f64_e32 v[32:33], v[32:33], v[36:37]
.LBB20_243:                             ;   in Loop: Header=BB20_27 Depth=2
	s_or_b32 exec_lo, exec_lo, s9
	s_barrier_signal -1
	s_barrier_wait -1
	s_and_saveexec_b32 s9, s1
; %bb.244:                              ;   in Loop: Header=BB20_27 Depth=2
	ds_store_b64 v34, v[32:33] offset:2048
; %bb.245:                              ;   in Loop: Header=BB20_27 Depth=2
	s_or_b32 exec_lo, exec_lo, s9
	s_wait_dscnt 0x0
	s_barrier_signal -1
	s_barrier_wait -1
	s_and_saveexec_b32 s9, s3
	s_cbranch_execz .LBB20_247
; %bb.246:                              ;   in Loop: Header=BB20_27 Depth=2
	v_add_nc_u32_e32 v35, 0x800, v34
	ds_load_2addr_b64 v[36:39], v35 offset1:32
	s_wait_dscnt 0x0
	v_add_f64_e32 v[32:33], v[36:37], v[38:39]
	ds_store_b64 v34, v[32:33] offset:2048
	global_wb scope:SCOPE_DEV
	s_wait_storecnt_dscnt 0x0
	global_inv scope:SCOPE_DEV
	ds_load_2addr_b64 v[36:39], v35 offset1:16
	s_wait_dscnt 0x0
	v_add_f64_e32 v[32:33], v[36:37], v[38:39]
	ds_store_b64 v34, v[32:33] offset:2048
	global_wb scope:SCOPE_DEV
	s_wait_storecnt 0x0
	s_wait_loadcnt_dscnt 0x0
	global_inv scope:SCOPE_DEV
	ds_load_2addr_b64 v[36:39], v35 offset1:8
	s_wait_dscnt 0x0
	v_add_f64_e32 v[32:33], v[36:37], v[38:39]
	ds_store_b64 v34, v[32:33] offset:2048
	global_wb scope:SCOPE_DEV
	s_wait_storecnt 0x0
	s_wait_loadcnt_dscnt 0x0
	;; [unrolled: 8-line block ×3, first 2 shown]
	global_inv scope:SCOPE_DEV
	ds_load_2addr_b64 v[36:39], v35 offset1:2
	v_add_nc_u32_e32 v35, 0x800, v34
	s_wait_dscnt 0x0
	v_add_f64_e32 v[32:33], v[36:37], v[38:39]
	ds_store_b64 v34, v[32:33] offset:2048
	global_wb scope:SCOPE_DEV
	s_wait_storecnt 0x0
	s_wait_loadcnt_dscnt 0x0
	global_inv scope:SCOPE_DEV
	ds_load_2addr_b64 v[36:39], v35 offset1:1
	s_wait_dscnt 0x0
	v_add_f64_e32 v[32:33], v[36:37], v[38:39]
	ds_store_b64 v34, v[32:33] offset:2048
	global_wb scope:SCOPE_DEV
	s_wait_storecnt 0x0
	s_wait_loadcnt_dscnt 0x0
	global_inv scope:SCOPE_DEV
.LBB20_247:                             ;   in Loop: Header=BB20_27 Depth=2
	s_or_b32 exec_lo, exec_lo, s9
	s_and_saveexec_b32 s9, s2
	s_cbranch_execz .LBB20_249
; %bb.248:                              ;   in Loop: Header=BB20_27 Depth=2
	ds_load_b64 v[32:33], v52 offset:2048
	s_wait_dscnt 0x0
	v_cmp_gt_f64_e32 vcc_lo, 0x10000000, v[32:33]
	s_and_b32 s10, vcc_lo, exec_lo
	s_cselect_b32 s10, 0x100, 0
	s_delay_alu instid0(SALU_CYCLE_1) | instskip(SKIP_1) | instid1(VALU_DEP_1)
	v_ldexp_f64 v[32:33], v[32:33], s10
	s_cselect_b32 s10, 0xffffff80, 0
	v_rsq_f64_e32 v[34:35], v[32:33]
	v_cmp_class_f64_e64 vcc_lo, v[32:33], 0x260
	s_delay_alu instid0(TRANS32_DEP_1) | instskip(SKIP_1) | instid1(VALU_DEP_1)
	v_mul_f64_e32 v[36:37], v[32:33], v[34:35]
	v_mul_f64_e32 v[34:35], 0.5, v[34:35]
	v_fma_f64 v[38:39], -v[34:35], v[36:37], 0.5
	s_delay_alu instid0(VALU_DEP_1) | instskip(SKIP_1) | instid1(VALU_DEP_2)
	v_fmac_f64_e32 v[36:37], v[36:37], v[38:39]
	v_fmac_f64_e32 v[34:35], v[34:35], v[38:39]
	v_fma_f64 v[38:39], -v[36:37], v[36:37], v[32:33]
	s_delay_alu instid0(VALU_DEP_1) | instskip(NEXT) | instid1(VALU_DEP_1)
	v_fmac_f64_e32 v[36:37], v[38:39], v[34:35]
	v_fma_f64 v[38:39], -v[36:37], v[36:37], v[32:33]
	s_delay_alu instid0(VALU_DEP_1) | instskip(NEXT) | instid1(VALU_DEP_1)
	v_fmac_f64_e32 v[36:37], v[38:39], v[34:35]
	v_ldexp_f64 v[34:35], v[36:37], s10
	s_delay_alu instid0(VALU_DEP_1)
	v_dual_cndmask_b32 v33, v35, v33 :: v_dual_cndmask_b32 v32, v34, v32
	ds_store_b64 v52, v[32:33] offset:2048
.LBB20_249:                             ;   in Loop: Header=BB20_27 Depth=2
	s_or_b32 exec_lo, exec_lo, s9
	s_wait_loadcnt_dscnt 0x0
	s_barrier_signal -1
	s_barrier_wait -1
	ds_load_b32 v34, v52 offset:4096
	ds_load_b64 v[32:33], v52 offset:2048
	s_wait_dscnt 0x1
	global_load_b64 v[34:35], v34, s[48:49] offset:-8 scale_offset
	s_wait_loadcnt_dscnt 0x0
	s_barrier_signal -1
	s_barrier_wait -1
	s_and_saveexec_b32 s9, s5
	s_cbranch_execz .LBB20_252
; %bb.250:                              ;   in Loop: Header=BB20_27 Depth=2
	v_cmp_nle_f64_e32 vcc_lo, 0, v[34:35]
	s_mov_b32 s10, 0xbff00000
	s_mov_b32 s18, 0
	s_and_b32 s19, vcc_lo, exec_lo
	s_cselect_b32 s19, s10, 0x3ff00000
	s_delay_alu instid0(SALU_CYCLE_1) | instskip(NEXT) | instid1(VALU_DEP_1)
	v_div_scale_f64 v[34:35], null, v[32:33], v[32:33], s[18:19]
	v_rcp_f64_e32 v[36:37], v[34:35]
	v_nop
	s_delay_alu instid0(TRANS32_DEP_1) | instskip(NEXT) | instid1(VALU_DEP_1)
	v_fma_f64 v[38:39], -v[34:35], v[36:37], 1.0
	v_fmac_f64_e32 v[36:37], v[36:37], v[38:39]
	s_delay_alu instid0(VALU_DEP_1) | instskip(NEXT) | instid1(VALU_DEP_1)
	v_fma_f64 v[38:39], -v[34:35], v[36:37], 1.0
	v_fmac_f64_e32 v[36:37], v[36:37], v[38:39]
	v_div_scale_f64 v[38:39], vcc_lo, s[18:19], v[32:33], s[18:19]
	s_delay_alu instid0(VALU_DEP_1) | instskip(NEXT) | instid1(VALU_DEP_1)
	v_mul_f64_e32 v[40:41], v[38:39], v[36:37]
	v_fma_f64 v[34:35], -v[34:35], v[40:41], v[38:39]
	s_delay_alu instid0(VALU_DEP_1) | instskip(SKIP_1) | instid1(VALU_DEP_2)
	v_div_fmas_f64 v[34:35], v[34:35], v[36:37], v[40:41]
	v_mov_b32_e32 v36, v0
	v_div_fixup_f64 v[32:33], v[34:35], v[32:33], s[18:19]
	v_mov_b64_e32 v[34:35], v[8:9]
.LBB20_251:                             ;   Parent Loop BB20_17 Depth=1
                                        ;     Parent Loop BB20_27 Depth=2
                                        ; =>    This Inner Loop Header: Depth=3
	global_load_b64 v[38:39], v[34:35], off
	v_add_nc_u32_e32 v36, 0x100, v36
	s_delay_alu instid0(VALU_DEP_1)
	v_cmp_lt_i32_e32 vcc_lo, s88, v36
	s_or_b32 s18, vcc_lo, s18
	s_wait_loadcnt 0x0
	v_mul_f64_e32 v[38:39], v[32:33], v[38:39]
	global_store_b64 v[34:35], v[38:39], off
	s_wait_xcnt 0x0
	v_add_nc_u64_e32 v[34:35], 0x800, v[34:35]
	s_and_not1_b32 exec_lo, exec_lo, s18
	s_cbranch_execnz .LBB20_251
.LBB20_252:                             ;   in Loop: Header=BB20_27 Depth=2
	s_or_b32 exec_lo, exec_lo, s9
	v_mov_b64_e32 v[32:33], v[30:31]
	s_wait_storecnt 0x0
	s_barrier_signal -1
	s_barrier_wait -1
	s_and_saveexec_b32 s10, s4
	s_cbranch_execz .LBB20_257
.LBB20_253:                             ;   in Loop: Header=BB20_27 Depth=2
	v_mov_b32_e32 v34, v0
	s_mov_b32 s18, 0
	s_branch .LBB20_255
.LBB20_254:                             ;   in Loop: Header=BB20_255 Depth=3
	s_wait_xcnt 0x0
	s_or_b32 exec_lo, exec_lo, s9
	v_add_nc_u32_e32 v35, vcc_hi, v34
	v_add_nc_u32_e32 v34, 0x100, v34
	s_wait_loadcnt 0x0
	global_store_b64 v35, v[30:31], s[46:47] scale_offset
	v_cmp_le_i32_e32 vcc_lo, s24, v34
	s_or_b32 s18, vcc_lo, s18
	s_wait_xcnt 0x0
	s_and_not1_b32 exec_lo, exec_lo, s18
	s_cbranch_execz .LBB20_257
.LBB20_255:                             ;   Parent Loop BB20_17 Depth=1
                                        ;     Parent Loop BB20_27 Depth=2
                                        ; =>    This Inner Loop Header: Depth=3
	s_delay_alu instid0(VALU_DEP_1) | instskip(SKIP_3) | instid1(SALU_CYCLE_1)
	v_cmp_le_i32_e32 vcc_lo, s84, v34
	v_cmp_gt_i32_e64 s9, s86, v34
	v_mov_b64_e32 v[30:31], 0
	s_and_b32 s19, vcc_lo, s9
	s_and_saveexec_b32 s9, s19
	s_cbranch_execz .LBB20_254
; %bb.256:                              ;   in Loop: Header=BB20_255 Depth=3
	v_add_nc_u32_e32 v30, s89, v34
	global_load_b64 v[30:31], v30, s[48:49] scale_offset
	s_branch .LBB20_254
.LBB20_257:                             ;   in Loop: Header=BB20_27 Depth=2
	s_or_b32 exec_lo, exec_lo, s10
	s_add_co_i32 s98, s98, 1
	s_add_co_i32 s104, s104, 1
	s_add_co_i32 vcc_hi, vcc_hi, s29
	s_cmp_ge_i32 s98, s44
	s_wait_storecnt 0x0
	s_barrier_signal -1
	s_barrier_wait -1
	s_cselect_b32 s9, -1, 0
	s_mov_b32 s10, s25
	s_and_b32 vcc_lo, exec_lo, s9
	s_cbranch_vccz .LBB20_27
	s_branch .LBB20_15
.LBB20_258:
	s_wait_xcnt 0x0
	s_and_saveexec_b32 s0, s2
	s_cbranch_execz .LBB20_260
; %bb.259:
	v_mov_b32_e32 v0, 0
	v_readlane_b32 s0, v62, 0
	v_readlane_b32 s1, v62, 1
	ds_load_b32 v1, v0
	s_add_nc_u64 s[0:1], s[14:15], s[0:1]
	s_wait_dscnt 0x0
	global_store_b32 v0, v1, s[0:1]
.LBB20_260:
	s_endpgm
	.section	.rodata,"a",@progbits
	.p2align	6, 0x0
	.amdhsa_kernel _ZN9rocsolver6v33100L12stein_kernelIddPdEEviPT0_lS4_lPiS4_lS5_lS5_lT1_iilS5_lS5_S4_S5_S3_S3_
		.amdhsa_group_segment_fixed_size 8
		.amdhsa_private_segment_fixed_size 0
		.amdhsa_kernarg_size 176
		.amdhsa_user_sgpr_count 2
		.amdhsa_user_sgpr_dispatch_ptr 0
		.amdhsa_user_sgpr_queue_ptr 0
		.amdhsa_user_sgpr_kernarg_segment_ptr 1
		.amdhsa_user_sgpr_dispatch_id 0
		.amdhsa_user_sgpr_kernarg_preload_length 0
		.amdhsa_user_sgpr_kernarg_preload_offset 0
		.amdhsa_user_sgpr_private_segment_size 0
		.amdhsa_wavefront_size32 1
		.amdhsa_uses_dynamic_stack 0
		.amdhsa_enable_private_segment 0
		.amdhsa_system_sgpr_workgroup_id_x 1
		.amdhsa_system_sgpr_workgroup_id_y 1
		.amdhsa_system_sgpr_workgroup_id_z 0
		.amdhsa_system_sgpr_workgroup_info 0
		.amdhsa_system_vgpr_workitem_id 0
		.amdhsa_next_free_vgpr 63
		.amdhsa_next_free_sgpr 105
		.amdhsa_named_barrier_count 0
		.amdhsa_reserve_vcc 1
		.amdhsa_float_round_mode_32 0
		.amdhsa_float_round_mode_16_64 0
		.amdhsa_float_denorm_mode_32 3
		.amdhsa_float_denorm_mode_16_64 3
		.amdhsa_fp16_overflow 0
		.amdhsa_memory_ordered 1
		.amdhsa_forward_progress 1
		.amdhsa_inst_pref_size 87
		.amdhsa_round_robin_scheduling 0
		.amdhsa_exception_fp_ieee_invalid_op 0
		.amdhsa_exception_fp_denorm_src 0
		.amdhsa_exception_fp_ieee_div_zero 0
		.amdhsa_exception_fp_ieee_overflow 0
		.amdhsa_exception_fp_ieee_underflow 0
		.amdhsa_exception_fp_ieee_inexact 0
		.amdhsa_exception_int_div_zero 0
	.end_amdhsa_kernel
	.section	.text._ZN9rocsolver6v33100L12stein_kernelIddPdEEviPT0_lS4_lPiS4_lS5_lS5_lT1_iilS5_lS5_S4_S5_S3_S3_,"axG",@progbits,_ZN9rocsolver6v33100L12stein_kernelIddPdEEviPT0_lS4_lPiS4_lS5_lS5_lT1_iilS5_lS5_S4_S5_S3_S3_,comdat
.Lfunc_end20:
	.size	_ZN9rocsolver6v33100L12stein_kernelIddPdEEviPT0_lS4_lPiS4_lS5_lS5_lT1_iilS5_lS5_S4_S5_S3_S3_, .Lfunc_end20-_ZN9rocsolver6v33100L12stein_kernelIddPdEEviPT0_lS4_lPiS4_lS5_lS5_lT1_iilS5_lS5_S4_S5_S3_S3_
                                        ; -- End function
	.set _ZN9rocsolver6v33100L12stein_kernelIddPdEEviPT0_lS4_lPiS4_lS5_lS5_lT1_iilS5_lS5_S4_S5_S3_S3_.num_vgpr, 63
	.set _ZN9rocsolver6v33100L12stein_kernelIddPdEEviPT0_lS4_lPiS4_lS5_lS5_lT1_iilS5_lS5_S4_S5_S3_S3_.num_agpr, 0
	.set _ZN9rocsolver6v33100L12stein_kernelIddPdEEviPT0_lS4_lPiS4_lS5_lS5_lT1_iilS5_lS5_S4_S5_S3_S3_.numbered_sgpr, 105
	.set _ZN9rocsolver6v33100L12stein_kernelIddPdEEviPT0_lS4_lPiS4_lS5_lS5_lT1_iilS5_lS5_S4_S5_S3_S3_.num_named_barrier, 0
	.set _ZN9rocsolver6v33100L12stein_kernelIddPdEEviPT0_lS4_lPiS4_lS5_lS5_lT1_iilS5_lS5_S4_S5_S3_S3_.private_seg_size, 0
	.set _ZN9rocsolver6v33100L12stein_kernelIddPdEEviPT0_lS4_lPiS4_lS5_lS5_lT1_iilS5_lS5_S4_S5_S3_S3_.uses_vcc, 1
	.set _ZN9rocsolver6v33100L12stein_kernelIddPdEEviPT0_lS4_lPiS4_lS5_lS5_lT1_iilS5_lS5_S4_S5_S3_S3_.uses_flat_scratch, 0
	.set _ZN9rocsolver6v33100L12stein_kernelIddPdEEviPT0_lS4_lPiS4_lS5_lS5_lT1_iilS5_lS5_S4_S5_S3_S3_.has_dyn_sized_stack, 0
	.set _ZN9rocsolver6v33100L12stein_kernelIddPdEEviPT0_lS4_lPiS4_lS5_lS5_lT1_iilS5_lS5_S4_S5_S3_S3_.has_recursion, 0
	.set _ZN9rocsolver6v33100L12stein_kernelIddPdEEviPT0_lS4_lPiS4_lS5_lS5_lT1_iilS5_lS5_S4_S5_S3_S3_.has_indirect_call, 0
	.section	.AMDGPU.csdata,"",@progbits
; Kernel info:
; codeLenInByte = 11032
; TotalNumSgprs: 107
; NumVgprs: 63
; ScratchSize: 0
; MemoryBound: 1
; FloatMode: 240
; IeeeMode: 1
; LDSByteSize: 8 bytes/workgroup (compile time only)
; SGPRBlocks: 0
; VGPRBlocks: 3
; NumSGPRsForWavesPerEU: 107
; NumVGPRsForWavesPerEU: 63
; NamedBarCnt: 0
; Occupancy: 16
; WaveLimiterHint : 1
; COMPUTE_PGM_RSRC2:SCRATCH_EN: 0
; COMPUTE_PGM_RSRC2:USER_SGPR: 2
; COMPUTE_PGM_RSRC2:TRAP_HANDLER: 0
; COMPUTE_PGM_RSRC2:TGID_X_EN: 1
; COMPUTE_PGM_RSRC2:TGID_Y_EN: 1
; COMPUTE_PGM_RSRC2:TGID_Z_EN: 0
; COMPUTE_PGM_RSRC2:TIDIG_COMP_CNT: 0
	.section	.text._ZN9rocsolver6v33100L15syevx_sort_eigsIddPdEEviPiPT0_lT1_iilS3_lS3_S3_,"axG",@progbits,_ZN9rocsolver6v33100L15syevx_sort_eigsIddPdEEviPiPT0_lT1_iilS3_lS3_S3_,comdat
	.globl	_ZN9rocsolver6v33100L15syevx_sort_eigsIddPdEEviPiPT0_lT1_iilS3_lS3_S3_ ; -- Begin function _ZN9rocsolver6v33100L15syevx_sort_eigsIddPdEEviPiPT0_lT1_iilS3_lS3_S3_
	.p2align	8
	.type	_ZN9rocsolver6v33100L15syevx_sort_eigsIddPdEEviPiPT0_lT1_iilS3_lS3_S3_,@function
_ZN9rocsolver6v33100L15syevx_sort_eigsIddPdEEviPiPT0_lT1_iilS3_lS3_S3_: ; @_ZN9rocsolver6v33100L15syevx_sort_eigsIddPdEEviPiPT0_lT1_iilS3_lS3_S3_
; %bb.0:
	s_load_b256 s[20:27], s[0:1], 0x8
	s_mov_b64 s[18:19], s[0:1]
	s_wait_xcnt 0x0
	s_bfe_u32 s0, ttmp6, 0x40010
	s_bfe_u32 s1, ttmp6, 0x40004
	s_add_co_i32 s0, s0, 1
	s_getreg_b32 s2, hwreg(HW_REG_IB_STS2, 6, 4)
	s_mul_i32 s0, ttmp7, s0
	s_load_b256 s[36:43], s[18:19], 0x30
	s_add_co_i32 s1, s1, s0
	s_cmp_eq_u32 s2, 0
	s_mov_b32 s35, 0
	s_cselect_b32 s34, ttmp7, s1
	s_mov_b64 s[28:29], 0
	s_mov_b32 s32, 0
	s_load_b64 s[0:1], s[18:19], 0x50
	s_wait_kmcnt 0x0
	s_load_b32 s44, s[20:21], s34 offset:0x0 scale_offset
	s_cmp_eq_u64 s[38:39], 0
	s_cbranch_scc1 .LBB21_2
; %bb.1:
	s_mul_u64 s[2:3], s[40:41], s[34:35]
	s_delay_alu instid0(SALU_CYCLE_1) | instskip(NEXT) | instid1(SALU_CYCLE_1)
	s_lshl_b64 s[2:3], s[2:3], 2
	s_add_nc_u64 s[28:29], s[38:39], s[2:3]
.LBB21_2:
	s_load_b32 s40, s[18:19], 0x0
	s_mov_b32 s2, -1
	s_wait_kmcnt 0x0
	s_cmp_le_i32 s44, s40
	s_cbranch_scc1 .LBB21_6
; %bb.3:
	s_and_b32 vcc_lo, exec_lo, s2
	s_cbranch_vccnz .LBB21_81
.LBB21_4:
	s_and_saveexec_b32 s0, s35
	s_cbranch_execnz .LBB21_82
.LBB21_5:
	s_endpgm
.LBB21_6:
	s_cmp_lg_u64 s[0:1], 0
	s_cbranch_scc0 .LBB21_28
; %bb.7:
	s_load_b64 s[2:3], s[18:19], 0x64
	s_load_b32 s41, s[42:43], s34 offset:0x0 scale_offset
	v_and_b32_e32 v1, 0x3ff, v0
	v_bfe_u32 v2, v0, 10, 10
	v_bfe_u32 v0, v0, 20, 10
	s_mul_i32 s38, s40, s34
	s_mov_b32 s39, 0
	s_delay_alu instid0(SALU_CYCLE_1)
	s_lshl_b64 s[4:5], s[38:39], 2
	s_barrier_signal -1
	s_add_nc_u64 s[20:21], s[0:1], s[4:5]
	s_barrier_wait -1
	s_wait_kmcnt 0x0
	s_lshr_b32 s6, s2, 16
	s_and_b32 s2, s2, 0xffff
	s_and_b32 s3, s3, 0xffff
	v_mad_u32_u24 v3, v2, s2, v1
	s_mul_i32 s2, s6, s2
	s_and_b32 s3, s3, 0xffff
	s_cmp_gt_i32 s44, 0
	s_mul_i32 s17, s2, s3
	v_mad_u32 v41, s2, v0, v3
	s_cselect_b32 s4, -1, 0
	s_cmp_lg_u64 s[22:23], 0
	s_cselect_b32 s5, -1, 0
	s_delay_alu instid0(SALU_CYCLE_1) | instskip(NEXT) | instid1(SALU_CYCLE_1)
	s_and_b32 s4, s5, s4
	s_and_b32 vcc_lo, exec_lo, s4
	s_cbranch_vccz .LBB21_29
; %bb.8:
	v_mad_u32 v42, s2, v0, v3
	s_cmp_lg_u64 s[0:1], 0
	s_cselect_b32 s10, -1, 0
	s_barrier_signal -1
	s_barrier_wait -1
	s_delay_alu instid0(VALU_DEP_1) | instskip(SKIP_1) | instid1(SALU_CYCLE_1)
	v_cmp_gt_u32_e32 vcc_lo, s44, v42
	s_and_b32 s1, s10, vcc_lo
	s_and_saveexec_b32 s0, s1
	s_cbranch_execz .LBB21_11
; %bb.9:
	v_mov_b32_e32 v3, v42
	s_mov_b32 s1, 0
.LBB21_10:                              ; =>This Inner Loop Header: Depth=1
	global_store_b32 v3, v3, s[20:21] scale_offset
	s_wait_xcnt 0x0
	v_add_nc_u32_e32 v3, s17, v3
	s_delay_alu instid0(VALU_DEP_1) | instskip(SKIP_1) | instid1(SALU_CYCLE_1)
	v_cmp_le_u32_e32 vcc_lo, s44, v3
	s_or_b32 s1, vcc_lo, s1
	s_and_not1_b32 exec_lo, exec_lo, s1
	s_cbranch_execnz .LBB21_10
.LBB21_11:
	s_or_b32 exec_lo, exec_lo, s0
	s_mul_u64 s[2:3], s[24:25], s[34:35]
	v_or3_b32 v0, v2, v0, v1
	s_lshl_b64 s[2:3], s[2:3], 3
	s_mov_b32 s1, 0
	s_add_nc_u64 s[2:3], s[22:23], s[2:3]
	s_mov_b32 s11, exec_lo
	s_wait_storecnt 0x0
	s_barrier_signal -1
	s_barrier_wait -1
	v_cmpx_eq_u32_e32 0, v0
	s_cbranch_execz .LBB21_31
; %bb.12:
	v_mov_b32_e32 v4, 0
	s_mov_b32 s12, 0
	s_get_pc_i64 s[4:5]
	s_add_nc_u64 s[4:5], s[4:5], __const._ZN9rocsolver6v33100L20shell_sort_ascendingIdiEEvT0_PT_PS2_.gaps@rel64+4
	s_branch .LBB21_14
.LBB21_13:                              ;   in Loop: Header=BB21_14 Depth=1
	s_wait_xcnt 0x0
	s_add_co_i32 s12, s12, 1
	s_delay_alu instid0(SALU_CYCLE_1)
	s_cmp_eq_u32 s12, 8
	s_cbranch_scc1 .LBB21_31
.LBB21_14:                              ; =>This Loop Header: Depth=1
                                        ;     Child Loop BB21_17 Depth 2
                                        ;       Child Loop BB21_21 Depth 3
	s_load_b32 s13, s[4:5], s12 offset:0x0 scale_offset
	s_wait_kmcnt 0x0
	s_cmp_ge_i32 s13, s44
	s_cbranch_scc1 .LBB21_13
; %bb.15:                               ;   in Loop: Header=BB21_14 Depth=1
	s_mov_b32 s14, 0
	s_mov_b32 s6, s13
	s_branch .LBB21_17
.LBB21_16:                              ;   in Loop: Header=BB21_17 Depth=2
	s_add_co_i32 s6, s6, 1
	s_add_co_i32 s14, s14, 1
	s_cmp_ge_i32 s6, s44
	s_cbranch_scc1 .LBB21_13
.LBB21_17:                              ;   Parent Loop BB21_14 Depth=1
                                        ; =>  This Loop Header: Depth=2
                                        ;       Child Loop BB21_21 Depth 3
	s_wait_xcnt 0x0
	v_mov_b32_e32 v0, s6
	s_and_not1_b32 vcc_lo, exec_lo, s10
	s_ashr_i32 s7, s6, 31
	global_load_b64 v[0:1], v0, s[2:3] scale_offset
	s_cbranch_vccnz .LBB21_19
; %bb.18:                               ;   in Loop: Header=BB21_17 Depth=2
	s_lshl_b64 s[8:9], s[6:7], 2
	s_delay_alu instid0(SALU_CYCLE_1)
	s_add_nc_u64 s[8:9], s[20:21], s[8:9]
	global_load_b32 v5, v4, s[8:9]
	s_cmp_lt_i32 s6, s13
	s_wait_xcnt 0x0
	s_mov_b64 s[8:9], s[6:7]
	s_mov_b32 s0, s14
	s_cbranch_scc0 .LBB21_21
	s_branch .LBB21_26
.LBB21_19:                              ;   in Loop: Header=BB21_17 Depth=2
	v_mov_b32_e32 v5, 0
	s_cmp_lt_i32 s6, s13
	s_mov_b64 s[8:9], s[6:7]
	s_mov_b32 s0, s14
	s_cbranch_scc0 .LBB21_21
	s_branch .LBB21_26
.LBB21_20:                              ;   in Loop: Header=BB21_21 Depth=3
                                        ; implicit-def: $sgpr7
	s_and_b32 vcc_lo, exec_lo, s9
	s_mov_b32 s0, s7
	s_cbranch_vccnz .LBB21_25
.LBB21_21:                              ;   Parent Loop BB21_14 Depth=1
                                        ;     Parent Loop BB21_17 Depth=2
                                        ; =>    This Inner Loop Header: Depth=3
	s_wait_xcnt 0x0
	v_mov_b32_e32 v2, s0
	s_add_co_i32 s8, s13, s0
	s_mov_b32 s9, -1
	global_load_b64 v[2:3], v2, s[2:3] scale_offset
	s_wait_loadcnt 0x0
	v_cmp_ngt_f64_e32 vcc_lo, v[2:3], v[0:1]
	s_cbranch_vccnz .LBB21_20
; %bb.22:                               ;   in Loop: Header=BB21_21 Depth=3
	v_mov_b32_e32 v6, s8
	s_and_not1_b32 vcc_lo, exec_lo, s10
	global_store_b64 v6, v[2:3], s[2:3] scale_offset
	s_cbranch_vccnz .LBB21_24
; %bb.23:                               ;   in Loop: Header=BB21_21 Depth=3
	s_lshl_b64 s[22:23], s[0:1], 2
	s_ashr_i32 s9, s8, 31
	s_add_nc_u64 s[22:23], s[20:21], s[22:23]
	s_lshl_b64 s[8:9], s[8:9], 2
	global_load_b32 v2, v4, s[22:23]
	s_add_nc_u64 s[8:9], s[20:21], s[8:9]
	s_wait_loadcnt 0x0
	global_store_b32 v4, v2, s[8:9]
.LBB21_24:                              ;   in Loop: Header=BB21_21 Depth=3
	s_sub_co_i32 s7, s0, s13
	s_cmp_lt_i32 s0, s13
	s_wait_xcnt 0x0
	s_mov_b32 s8, s0
	s_cselect_b32 s9, -1, 0
	s_delay_alu instid0(SALU_CYCLE_1)
	s_and_b32 vcc_lo, exec_lo, s9
	s_mov_b32 s0, s7
	s_cbranch_vccz .LBB21_21
.LBB21_25:                              ;   in Loop: Header=BB21_17 Depth=2
	s_ashr_i32 s9, s8, 31
.LBB21_26:                              ;   in Loop: Header=BB21_17 Depth=2
	s_delay_alu instid0(SALU_CYCLE_1)
	s_lshl_b64 s[22:23], s[8:9], 3
	s_and_not1_b32 vcc_lo, exec_lo, s10
	s_add_nc_u64 s[22:23], s[2:3], s[22:23]
	s_wait_loadcnt 0x0
	global_store_b64 v4, v[0:1], s[22:23]
	s_cbranch_vccnz .LBB21_16
; %bb.27:                               ;   in Loop: Header=BB21_17 Depth=2
	s_lshl_b64 s[8:9], s[8:9], 2
	s_delay_alu instid0(SALU_CYCLE_1)
	s_add_nc_u64 s[8:9], s[20:21], s[8:9]
	global_store_b32 v4, v5, s[8:9]
	s_branch .LBB21_16
.LBB21_28:
	s_cbranch_execnz .LBB21_79
	s_branch .LBB21_80
.LBB21_29:
	s_mov_b32 s24, 0
                                        ; implicit-def: $vgpr42
                                        ; implicit-def: $vgpr2
	s_cbranch_execnz .LBB21_46
.LBB21_30:
	v_mov_b32_e32 v41, v42
	s_and_saveexec_b32 s25, s39
	s_cbranch_execnz .LBB21_47
	s_branch .LBB21_78
.LBB21_31:
	s_wait_xcnt 0x0
	s_or_b32 exec_lo, exec_lo, s11
	s_cmp_lt_u32 s44, 2
	s_mov_b32 s39, 0
	s_cselect_b32 s5, -1, 0
	s_wait_storecnt 0x0
	s_and_b32 vcc_lo, exec_lo, s5
	s_barrier_signal -1
	s_barrier_wait -1
	s_cbranch_vccnz .LBB21_39
; %bb.32:
	s_add_co_i32 s4, s44, -1
	s_mov_b32 s5, -1
	s_mov_b32 s0, 0
	s_mov_b32 s1, exec_lo
	v_cmpx_gt_u32_e64 s4, v42
	s_cbranch_execz .LBB21_41
; %bb.33:
	v_dual_mov_b32 v1, 0 :: v_dual_mov_b32 v0, v42
	s_mov_b32 s5, 0
                                        ; implicit-def: $sgpr6
	s_branch .LBB21_35
.LBB21_34:                              ;   in Loop: Header=BB21_35 Depth=1
	s_or_b32 exec_lo, exec_lo, s9
	s_xor_b32 s7, s8, -1
	s_and_b32 s0, exec_lo, s0
	s_delay_alu instid0(SALU_CYCLE_1) | instskip(SKIP_2) | instid1(SALU_CYCLE_1)
	s_or_b32 s5, s0, s5
	s_and_not1_b32 s0, s6, exec_lo
	s_and_b32 s6, s7, exec_lo
	s_or_b32 s6, s0, s6
	s_and_not1_b32 exec_lo, exec_lo, s5
	s_cbranch_execz .LBB21_40
.LBB21_35:                              ; =>This Inner Loop Header: Depth=1
	global_load_b64 v[2:3], v0, s[2:3] scale_offset
	s_mov_b32 s8, exec_lo
	s_wait_loadcnt 0x0
	v_cmp_u_f64_e64 s7, v[2:3], v[2:3]
	v_cmpx_o_f64_e32 v[2:3], v[2:3]
	s_cbranch_execz .LBB21_37
; %bb.36:                               ;   in Loop: Header=BB21_35 Depth=1
	v_lshl_add_u64 v[4:5], v[0:1], 3, s[2:3]
	s_and_not1_b32 s7, s7, exec_lo
	global_load_b64 v[4:5], v[4:5], off offset:8
	s_wait_loadcnt 0x0
	v_cmp_u_f64_e32 vcc_lo, v[4:5], v[4:5]
	v_cmp_le_f64_e64 s0, v[2:3], v[4:5]
	s_or_b32 s0, vcc_lo, s0
	s_delay_alu instid0(SALU_CYCLE_1) | instskip(NEXT) | instid1(SALU_CYCLE_1)
	s_and_b32 s0, s0, exec_lo
	s_or_b32 s7, s7, s0
.LBB21_37:                              ;   in Loop: Header=BB21_35 Depth=1
	s_or_b32 exec_lo, exec_lo, s8
	s_mov_b32 s0, -1
	s_mov_b32 s8, -1
	s_and_saveexec_b32 s9, s7
	s_cbranch_execz .LBB21_34
; %bb.38:                               ;   in Loop: Header=BB21_35 Depth=1
	v_add_nc_u32_e32 v0, s17, v0
	s_xor_b32 s8, exec_lo, -1
	s_delay_alu instid0(VALU_DEP_1)
	v_cmp_le_u32_e32 vcc_lo, s4, v0
	s_or_not1_b32 s0, vcc_lo, exec_lo
	s_branch .LBB21_34
.LBB21_39:
	s_mov_b32 s0, 0
	s_and_saveexec_b32 s1, s5
	s_cbranch_execnz .LBB21_42
	s_branch .LBB21_43
.LBB21_40:
	s_or_b32 exec_lo, exec_lo, s5
	s_delay_alu instid0(SALU_CYCLE_1)
	s_mov_b32 s0, exec_lo
	s_or_not1_b32 s5, s6, exec_lo
.LBB21_41:
	s_or_b32 exec_lo, exec_lo, s1
	s_and_saveexec_b32 s1, s5
	s_cbranch_execz .LBB21_43
.LBB21_42:
	s_mov_b32 s39, exec_lo
	s_barrier_signal -1
	s_barrier_wait -1
	s_and_not1_b32 s0, s0, exec_lo
.LBB21_43:
	s_or_b32 exec_lo, exec_lo, s1
	s_mov_b32 s22, 0
	s_mov_b32 s24, 0
	s_and_saveexec_b32 s1, s0
	s_delay_alu instid0(SALU_CYCLE_1)
	s_xor_b32 s23, exec_lo, s1
	s_cbranch_execz .LBB21_45
; %bb.44:
	s_get_pc_i64 s[0:1]
	s_add_nc_u64 s[0:1], s[0:1], .str.7@rel64+4
	s_get_pc_i64 s[2:3]
	s_add_nc_u64 s[2:3], s[2:3], .str.8@rel64+4
	s_get_pc_i64 s[4:5]
	s_add_nc_u64 s[4:5], s[4:5], __PRETTY_FUNCTION__._ZN9rocsolver6v33100L20shell_sort_ascendingIdiEEvT0_PT_PS2_@rel64+4
	v_dual_mov_b32 v0, s0 :: v_dual_mov_b32 v1, s1
	v_dual_mov_b32 v2, s2 :: v_dual_mov_b32 v3, s3
	;; [unrolled: 1-line block ×3, first 2 shown]
	v_mov_b32_e32 v6, s5
	s_add_nc_u64 s[8:9], s[18:19], 0x58
	s_get_pc_i64 s[6:7]
	s_add_nc_u64 s[6:7], s[6:7], __assert_fail@rel64+4
	s_delay_alu instid0(SALU_CYCLE_1)
	s_swap_pc_i64 s[30:31], s[6:7]
	s_mov_b32 s24, exec_lo
.LBB21_45:
	s_or_b32 exec_lo, exec_lo, s23
	v_mov_b32_e32 v2, s17
	s_and_b32 vcc_lo, exec_lo, s22
	s_cbranch_vccz .LBB21_30
.LBB21_46:
	v_mov_b32_e32 v2, s17
	s_or_b32 s39, s39, exec_lo
	s_delay_alu instid0(SALU_CYCLE_1)
	s_and_saveexec_b32 s25, s39
	s_cbranch_execz .LBB21_78
.LBB21_47:
	s_cmp_lt_i32 s44, 1
	s_wait_storecnt 0x0
	s_barrier_signal -1
	s_barrier_wait -1
	s_cbranch_scc1 .LBB21_67
; %bb.48:
	s_load_b64 s[8:9], s[18:19], 0x28
	s_mul_u64 s[6:7], s[36:37], s[34:35]
	v_cmp_eq_u32_e64 s0, 0, v41
	s_lshl_b64 s[6:7], s[6:7], 3
	v_cmp_gt_i32_e64 s1, s40, v41
	v_cmp_gt_i32_e64 s2, s41, v41
	v_mov_b32_e32 v3, 0
	s_add_nc_u64 s[10:11], s[26:27], s[6:7]
	s_mov_b32 s5, 0
	s_delay_alu instid0(SALU_CYCLE_1)
	s_mov_b32 s4, s5
	s_wait_kmcnt 0x0
	s_ashr_i32 s13, s8, 31
	s_mov_b32 s12, s8
	s_ashr_i32 s7, s9, 31
	s_mov_b32 s6, s9
	s_lshl_b64 s[8:9], s[12:13], 3
	s_cmp_lg_u64 s[28:29], 0
	s_add_nc_u64 s[8:9], s[10:11], s[8:9]
	s_cselect_b32 s3, -1, 0
	s_branch .LBB21_50
.LBB21_49:                              ;   in Loop: Header=BB21_50 Depth=1
	s_add_co_i32 s4, s4, 1
	s_delay_alu instid0(SALU_CYCLE_1)
	s_cmp_eq_u32 s4, s44
	s_cbranch_scc1 .LBB21_67
.LBB21_50:                              ; =>This Loop Header: Depth=1
                                        ;     Child Loop BB21_54 Depth 2
                                        ;       Child Loop BB21_58 Depth 3
                                        ;       Child Loop BB21_63 Depth 3
	v_mov_b32_e32 v0, s4
	s_barrier_signal -1
	s_barrier_wait -1
	global_load_b32 v0, v0, s[20:21] scale_offset
	s_wait_loadcnt 0x0
	v_cmp_eq_u32_e32 vcc_lo, s4, v0
	v_readfirstlane_b32 s12, v0
	s_cbranch_vccnz .LBB21_49
; %bb.51:                               ;   in Loop: Header=BB21_50 Depth=1
	s_lshl_b64 s[10:11], s[4:5], 2
	s_delay_alu instid0(SALU_CYCLE_1)
	s_add_nc_u64 s[10:11], s[20:21], s[10:11]
	s_branch .LBB21_54
.LBB21_52:                              ;   in Loop: Header=BB21_54 Depth=2
	s_or_b32 exec_lo, exec_lo, s13
	s_wait_storecnt 0x0
	s_barrier_signal -1
	s_barrier_wait -1
.LBB21_53:                              ;   in Loop: Header=BB21_54 Depth=2
	global_load_b32 v0, v3, s[10:11]
	s_wait_loadcnt 0x0
	v_cmp_ne_u32_e32 vcc_lo, s4, v0
	v_readfirstlane_b32 s12, v0
	s_cbranch_vccz .LBB21_49
.LBB21_54:                              ;   Parent Loop BB21_50 Depth=1
                                        ; =>  This Loop Header: Depth=2
                                        ;       Child Loop BB21_58 Depth 3
                                        ;       Child Loop BB21_63 Depth 3
	v_mov_b32_e32 v0, s12
	s_ashr_i32 s13, s12, 31
	global_load_b32 v0, v0, s[20:21] scale_offset
	s_wait_loadcnt 0x0
	s_barrier_signal -1
	s_barrier_wait -1
	v_readfirstlane_b32 s14, v0
	s_wait_xcnt 0x0
	s_and_saveexec_b32 s15, s0
	s_cbranch_execz .LBB21_56
; %bb.55:                               ;   in Loop: Header=BB21_54 Depth=2
	v_dual_mov_b32 v0, s12 :: v_dual_mov_b32 v1, s14
	s_lshl_b64 s[16:17], s[12:13], 2
	s_delay_alu instid0(SALU_CYCLE_1)
	s_add_nc_u64 s[16:17], s[20:21], s[16:17]
	s_clause 0x1
	global_store_b32 v3, v0, s[16:17]
	global_store_b32 v3, v1, s[10:11]
.LBB21_56:                              ;   in Loop: Header=BB21_54 Depth=2
	s_wait_xcnt 0x0
	s_or_b32 exec_lo, exec_lo, s15
	s_wait_storecnt 0x0
	s_barrier_signal -1
	s_barrier_wait -1
	s_barrier_signal -1
	s_barrier_wait -1
	s_and_saveexec_b32 s26, s1
	s_cbranch_execz .LBB21_59
; %bb.57:                               ;   in Loop: Header=BB21_54 Depth=2
	s_ashr_i32 s15, s14, 31
	s_mul_u64 s[16:17], s[12:13], s[6:7]
	s_mul_u64 s[22:23], s[14:15], s[6:7]
	v_mov_b32_e32 v0, v41
	s_lshl_b64 s[16:17], s[16:17], 3
	s_lshl_b64 s[22:23], s[22:23], 3
	s_add_nc_u64 s[16:17], s[8:9], s[16:17]
	s_add_nc_u64 s[22:23], s[8:9], s[22:23]
	s_mov_b32 s13, 0
.LBB21_58:                              ;   Parent Loop BB21_50 Depth=1
                                        ;     Parent Loop BB21_54 Depth=2
                                        ; =>    This Inner Loop Header: Depth=3
	s_clause 0x1
	global_load_b64 v[4:5], v0, s[22:23] scale_offset
	global_load_b64 v[6:7], v0, s[16:17] scale_offset
	s_wait_loadcnt 0x1
	global_store_b64 v0, v[4:5], s[16:17] scale_offset
	s_wait_loadcnt 0x0
	global_store_b64 v0, v[6:7], s[22:23] scale_offset
	s_wait_xcnt 0x0
	v_add_nc_u32_e32 v0, v0, v2
	s_delay_alu instid0(VALU_DEP_1) | instskip(SKIP_1) | instid1(SALU_CYCLE_1)
	v_cmp_le_i32_e32 vcc_lo, s40, v0
	s_or_b32 s13, vcc_lo, s13
	s_and_not1_b32 exec_lo, exec_lo, s13
	s_cbranch_execnz .LBB21_58
.LBB21_59:                              ;   in Loop: Header=BB21_54 Depth=2
	s_or_b32 exec_lo, exec_lo, s26
	s_delay_alu instid0(SALU_CYCLE_1)
	s_and_b32 vcc_lo, exec_lo, s3
	s_wait_storecnt 0x0
	s_barrier_signal -1
	s_barrier_wait -1
	s_cbranch_vccz .LBB21_53
; %bb.60:                               ;   in Loop: Header=BB21_54 Depth=2
	s_barrier_signal -1
	s_barrier_wait -1
	s_and_saveexec_b32 s13, s2
	s_cbranch_execz .LBB21_52
; %bb.61:                               ;   in Loop: Header=BB21_54 Depth=2
	v_mov_b32_e32 v0, v41
	s_add_co_i32 s12, s12, 1
	s_add_co_i32 s14, s14, 1
	s_mov_b32 s15, 0
	s_branch .LBB21_63
.LBB21_62:                              ;   in Loop: Header=BB21_63 Depth=3
	s_wait_xcnt 0x0
	s_or_b32 exec_lo, exec_lo, s17
	v_add_nc_u32_e32 v0, v0, v2
	s_delay_alu instid0(VALU_DEP_1) | instskip(SKIP_1) | instid1(SALU_CYCLE_1)
	v_cmp_le_i32_e32 vcc_lo, s41, v0
	s_or_b32 s15, vcc_lo, s15
	s_and_not1_b32 exec_lo, exec_lo, s15
	s_cbranch_execz .LBB21_52
.LBB21_63:                              ;   Parent Loop BB21_50 Depth=1
                                        ;     Parent Loop BB21_54 Depth=2
                                        ; =>    This Inner Loop Header: Depth=3
	global_load_b32 v1, v0, s[28:29] scale_offset
	v_mov_b32_e32 v4, s14
	s_mov_b32 s17, exec_lo
	s_wait_loadcnt 0x0
	v_cmp_eq_u32_e64 s16, s12, v1
	s_wait_xcnt 0x0
	v_cmpx_ne_u32_e64 s12, v1
; %bb.64:                               ;   in Loop: Header=BB21_63 Depth=3
	v_cmp_eq_u32_e32 vcc_lo, s14, v1
	v_mov_b32_e32 v4, s12
	s_and_not1_b32 s16, s16, exec_lo
	s_and_b32 s22, vcc_lo, exec_lo
	s_delay_alu instid0(SALU_CYCLE_1)
	s_or_b32 s16, s16, s22
; %bb.65:                               ;   in Loop: Header=BB21_63 Depth=3
	s_or_b32 exec_lo, exec_lo, s17
	s_and_saveexec_b32 s17, s16
	s_cbranch_execz .LBB21_62
; %bb.66:                               ;   in Loop: Header=BB21_63 Depth=3
	v_ashrrev_i32_e32 v1, 31, v0
	s_delay_alu instid0(VALU_DEP_1)
	v_lshl_add_u64 v[6:7], v[0:1], 2, s[28:29]
	global_store_b32 v[6:7], v4, off
	s_branch .LBB21_62
.LBB21_67:
	s_mov_b32 s2, -1
	s_mov_b32 s1, 0
	s_mov_b32 s0, exec_lo
	s_barrier_signal -1
	s_barrier_wait -1
	v_cmpx_gt_u32_e64 s44, v41
	s_cbranch_execz .LBB21_73
; %bb.68:
                                        ; implicit-def: $sgpr2
                                        ; implicit-def: $sgpr4
                                        ; implicit-def: $sgpr3
	s_branch .LBB21_70
.LBB21_69:                              ;   in Loop: Header=BB21_70 Depth=1
	s_or_b32 exec_lo, exec_lo, s5
	s_xor_b32 s5, s3, -1
	s_and_b32 s6, exec_lo, s4
	s_delay_alu instid0(SALU_CYCLE_1) | instskip(SKIP_2) | instid1(SALU_CYCLE_1)
	s_or_b32 s1, s6, s1
	s_and_not1_b32 s2, s2, exec_lo
	s_and_b32 s5, s5, exec_lo
	s_or_b32 s2, s2, s5
	s_and_not1_b32 exec_lo, exec_lo, s1
	s_cbranch_execz .LBB21_72
.LBB21_70:                              ; =>This Inner Loop Header: Depth=1
	global_load_b32 v0, v41, s[20:21] scale_offset
	s_or_b32 s3, s3, exec_lo
	s_or_b32 s4, s4, exec_lo
	s_mov_b32 s5, exec_lo
	s_wait_loadcnt 0x0
	v_cmpx_eq_u32_e64 v41, v0
	s_cbranch_execz .LBB21_69
; %bb.71:                               ;   in Loop: Header=BB21_70 Depth=1
	v_add_nc_u32_e32 v41, v41, v2
	s_and_not1_b32 s4, s4, exec_lo
	s_and_not1_b32 s3, s3, exec_lo
	s_delay_alu instid0(VALU_DEP_1) | instskip(SKIP_1) | instid1(SALU_CYCLE_1)
	v_cmp_le_u32_e32 vcc_lo, s44, v41
	s_and_b32 s6, vcc_lo, exec_lo
	s_or_b32 s4, s4, s6
	s_branch .LBB21_69
.LBB21_72:
	s_or_b32 exec_lo, exec_lo, s1
	s_delay_alu instid0(SALU_CYCLE_1)
	s_mov_b32 s1, exec_lo
	s_or_not1_b32 s2, s2, exec_lo
.LBB21_73:
	s_or_b32 exec_lo, exec_lo, s0
	s_and_saveexec_b32 s0, s2
	s_cbranch_execz .LBB21_75
; %bb.74:
	s_and_not1_b32 s1, s1, exec_lo
	s_barrier_signal -1
	s_barrier_wait -1
	s_barrier_signal -1
	s_barrier_wait -1
.LBB21_75:
	s_or_b32 exec_lo, exec_lo, s0
	s_mov_b32 s0, s24
	s_and_saveexec_b32 s2, s1
	s_delay_alu instid0(SALU_CYCLE_1)
	s_xor_b32 s17, exec_lo, s2
	s_cbranch_execz .LBB21_77
; %bb.76:
	s_get_pc_i64 s[0:1]
	s_add_nc_u64 s[0:1], s[0:1], .str.10@rel64+4
	s_get_pc_i64 s[2:3]
	s_add_nc_u64 s[2:3], s[2:3], .str.5@rel64+4
	s_get_pc_i64 s[4:5]
	s_add_nc_u64 s[4:5], s[4:5], __PRETTY_FUNCTION__._ZN9rocsolver6v33100L18syevx_permute_swapIdEEviiiPiPT_iS2_@rel64+4
	v_dual_mov_b32 v0, s0 :: v_dual_mov_b32 v1, s1
	v_dual_mov_b32 v2, s2 :: v_dual_mov_b32 v3, s3
	;; [unrolled: 1-line block ×3, first 2 shown]
	v_mov_b32_e32 v6, s5
	s_add_nc_u64 s[8:9], s[18:19], 0x58
	s_get_pc_i64 s[6:7]
	s_add_nc_u64 s[6:7], s[6:7], __assert_fail@rel64+4
	s_delay_alu instid0(SALU_CYCLE_1)
	s_swap_pc_i64 s[30:31], s[6:7]
	s_or_b32 s0, s24, exec_lo
.LBB21_77:
	s_or_b32 exec_lo, exec_lo, s17
	s_delay_alu instid0(SALU_CYCLE_1) | instskip(SKIP_1) | instid1(SALU_CYCLE_1)
	s_and_not1_b32 s1, s24, exec_lo
	s_and_b32 s0, s0, exec_lo
	s_or_b32 s24, s1, s0
.LBB21_78:
	s_or_b32 exec_lo, exec_lo, s25
	s_mov_b32 s35, s24
	s_branch .LBB21_80
.LBB21_79:
	s_get_pc_i64 s[0:1]
	s_add_nc_u64 s[0:1], s[0:1], .str.6@rel64+4
	s_get_pc_i64 s[2:3]
	s_add_nc_u64 s[2:3], s[2:3], .str.5@rel64+4
	s_get_pc_i64 s[4:5]
	s_add_nc_u64 s[4:5], s[4:5], __PRETTY_FUNCTION__._ZN9rocsolver6v33100L15syevx_sort_eigsIddPdEEviPiPT0_lT1_iilS3_lS3_S3_@rel64+4
	v_dual_mov_b32 v0, s0 :: v_dual_mov_b32 v1, s1
	v_dual_mov_b32 v2, s2 :: v_dual_mov_b32 v3, s3
	;; [unrolled: 1-line block ×3, first 2 shown]
	v_mov_b32_e32 v6, s5
	s_add_nc_u64 s[8:9], s[18:19], 0x58
	s_get_pc_i64 s[6:7]
	s_add_nc_u64 s[6:7], s[6:7], __assert_fail@rel64+4
	s_delay_alu instid0(SALU_CYCLE_1)
	s_swap_pc_i64 s[30:31], s[6:7]
	s_or_b32 s35, s35, exec_lo
.LBB21_80:
	s_branch .LBB21_4
.LBB21_81:
	s_get_pc_i64 s[0:1]
	s_add_nc_u64 s[0:1], s[0:1], .str.4@rel64+4
	s_get_pc_i64 s[2:3]
	s_add_nc_u64 s[2:3], s[2:3], .str.5@rel64+4
	s_get_pc_i64 s[4:5]
	s_add_nc_u64 s[4:5], s[4:5], __PRETTY_FUNCTION__._ZN9rocsolver6v33100L15syevx_sort_eigsIddPdEEviPiPT0_lT1_iilS3_lS3_S3_@rel64+4
	v_dual_mov_b32 v0, s0 :: v_dual_mov_b32 v1, s1
	v_dual_mov_b32 v2, s2 :: v_dual_mov_b32 v3, s3
	;; [unrolled: 1-line block ×3, first 2 shown]
	v_mov_b32_e32 v6, s5
	s_add_nc_u64 s[8:9], s[18:19], 0x58
	s_get_pc_i64 s[6:7]
	s_add_nc_u64 s[6:7], s[6:7], __assert_fail@rel64+4
	s_delay_alu instid0(SALU_CYCLE_1) | instskip(SKIP_1) | instid1(SALU_CYCLE_1)
	s_swap_pc_i64 s[30:31], s[6:7]
	s_or_b32 s35, s35, exec_lo
	s_and_saveexec_b32 s0, s35
	s_cbranch_execz .LBB21_5
.LBB21_82:
	; divergent unreachable
	s_endpgm
	.section	.rodata,"a",@progbits
	.p2align	6, 0x0
	.amdhsa_kernel _ZN9rocsolver6v33100L15syevx_sort_eigsIddPdEEviPiPT0_lT1_iilS3_lS3_S3_
		.amdhsa_group_segment_fixed_size 0
		.amdhsa_private_segment_fixed_size 64
		.amdhsa_kernarg_size 344
		.amdhsa_user_sgpr_count 2
		.amdhsa_user_sgpr_dispatch_ptr 0
		.amdhsa_user_sgpr_queue_ptr 0
		.amdhsa_user_sgpr_kernarg_segment_ptr 1
		.amdhsa_user_sgpr_dispatch_id 0
		.amdhsa_user_sgpr_kernarg_preload_length 0
		.amdhsa_user_sgpr_kernarg_preload_offset 0
		.amdhsa_user_sgpr_private_segment_size 0
		.amdhsa_wavefront_size32 1
		.amdhsa_uses_dynamic_stack 0
		.amdhsa_enable_private_segment 1
		.amdhsa_system_sgpr_workgroup_id_x 1
		.amdhsa_system_sgpr_workgroup_id_y 1
		.amdhsa_system_sgpr_workgroup_id_z 0
		.amdhsa_system_sgpr_workgroup_info 0
		.amdhsa_system_vgpr_workitem_id 2
		.amdhsa_next_free_vgpr 55
		.amdhsa_next_free_sgpr 45
		.amdhsa_named_barrier_count 0
		.amdhsa_reserve_vcc 1
		.amdhsa_float_round_mode_32 0
		.amdhsa_float_round_mode_16_64 0
		.amdhsa_float_denorm_mode_32 3
		.amdhsa_float_denorm_mode_16_64 3
		.amdhsa_fp16_overflow 0
		.amdhsa_memory_ordered 1
		.amdhsa_forward_progress 1
		.amdhsa_inst_pref_size 22
		.amdhsa_round_robin_scheduling 0
		.amdhsa_exception_fp_ieee_invalid_op 0
		.amdhsa_exception_fp_denorm_src 0
		.amdhsa_exception_fp_ieee_div_zero 0
		.amdhsa_exception_fp_ieee_overflow 0
		.amdhsa_exception_fp_ieee_underflow 0
		.amdhsa_exception_fp_ieee_inexact 0
		.amdhsa_exception_int_div_zero 0
	.end_amdhsa_kernel
	.section	.text._ZN9rocsolver6v33100L15syevx_sort_eigsIddPdEEviPiPT0_lT1_iilS3_lS3_S3_,"axG",@progbits,_ZN9rocsolver6v33100L15syevx_sort_eigsIddPdEEviPiPT0_lT1_iilS3_lS3_S3_,comdat
.Lfunc_end21:
	.size	_ZN9rocsolver6v33100L15syevx_sort_eigsIddPdEEviPiPT0_lT1_iilS3_lS3_S3_, .Lfunc_end21-_ZN9rocsolver6v33100L15syevx_sort_eigsIddPdEEviPiPT0_lT1_iilS3_lS3_S3_
                                        ; -- End function
	.set _ZN9rocsolver6v33100L15syevx_sort_eigsIddPdEEviPiPT0_lT1_iilS3_lS3_S3_.num_vgpr, max(43, .L__assert_fail.num_vgpr)
	.set _ZN9rocsolver6v33100L15syevx_sort_eigsIddPdEEviPiPT0_lT1_iilS3_lS3_S3_.num_agpr, max(0, .L__assert_fail.num_agpr)
	.set _ZN9rocsolver6v33100L15syevx_sort_eigsIddPdEEviPiPT0_lT1_iilS3_lS3_S3_.numbered_sgpr, max(45, .L__assert_fail.numbered_sgpr)
	.set _ZN9rocsolver6v33100L15syevx_sort_eigsIddPdEEviPiPT0_lT1_iilS3_lS3_S3_.num_named_barrier, max(0, .L__assert_fail.num_named_barrier)
	.set _ZN9rocsolver6v33100L15syevx_sort_eigsIddPdEEviPiPT0_lT1_iilS3_lS3_S3_.private_seg_size, 0+max(.L__assert_fail.private_seg_size)
	.set _ZN9rocsolver6v33100L15syevx_sort_eigsIddPdEEviPiPT0_lT1_iilS3_lS3_S3_.uses_vcc, or(1, .L__assert_fail.uses_vcc)
	.set _ZN9rocsolver6v33100L15syevx_sort_eigsIddPdEEviPiPT0_lT1_iilS3_lS3_S3_.uses_flat_scratch, or(0, .L__assert_fail.uses_flat_scratch)
	.set _ZN9rocsolver6v33100L15syevx_sort_eigsIddPdEEviPiPT0_lT1_iilS3_lS3_S3_.has_dyn_sized_stack, or(0, .L__assert_fail.has_dyn_sized_stack)
	.set _ZN9rocsolver6v33100L15syevx_sort_eigsIddPdEEviPiPT0_lT1_iilS3_lS3_S3_.has_recursion, or(0, .L__assert_fail.has_recursion)
	.set _ZN9rocsolver6v33100L15syevx_sort_eigsIddPdEEviPiPT0_lT1_iilS3_lS3_S3_.has_indirect_call, or(0, .L__assert_fail.has_indirect_call)
	.section	.AMDGPU.csdata,"",@progbits
; Kernel info:
; codeLenInByte = 2748
; TotalNumSgprs: 47
; NumVgprs: 55
; ScratchSize: 64
; MemoryBound: 0
; FloatMode: 240
; IeeeMode: 1
; LDSByteSize: 0 bytes/workgroup (compile time only)
; SGPRBlocks: 0
; VGPRBlocks: 3
; NumSGPRsForWavesPerEU: 47
; NumVGPRsForWavesPerEU: 55
; NamedBarCnt: 0
; Occupancy: 16
; WaveLimiterHint : 1
; COMPUTE_PGM_RSRC2:SCRATCH_EN: 1
; COMPUTE_PGM_RSRC2:USER_SGPR: 2
; COMPUTE_PGM_RSRC2:TRAP_HANDLER: 0
; COMPUTE_PGM_RSRC2:TGID_X_EN: 1
; COMPUTE_PGM_RSRC2:TGID_Y_EN: 1
; COMPUTE_PGM_RSRC2:TGID_Z_EN: 0
; COMPUTE_PGM_RSRC2:TIDIG_COMP_CNT: 2
	.section	.text._ZN9rocsolver6v33100L19bdsvdx_reorder_vectIdPdEEv13rocblas_fill_iPiPT_lT0_iilS6_,"axG",@progbits,_ZN9rocsolver6v33100L19bdsvdx_reorder_vectIdPdEEv13rocblas_fill_iPiPT_lT0_iilS6_,comdat
	.globl	_ZN9rocsolver6v33100L19bdsvdx_reorder_vectIdPdEEv13rocblas_fill_iPiPT_lT0_iilS6_ ; -- Begin function _ZN9rocsolver6v33100L19bdsvdx_reorder_vectIdPdEEv13rocblas_fill_iPiPT_lT0_iilS6_
	.p2align	8
	.type	_ZN9rocsolver6v33100L19bdsvdx_reorder_vectIdPdEEv13rocblas_fill_iPiPT_lT0_iilS6_,@function
_ZN9rocsolver6v33100L19bdsvdx_reorder_vectIdPdEEv13rocblas_fill_iPiPT_lT0_iilS6_: ; @_ZN9rocsolver6v33100L19bdsvdx_reorder_vectIdPdEEv13rocblas_fill_iPiPT_lT0_iilS6_
; %bb.0:
	s_load_b256 s[4:11], s[0:1], 0x8
	s_bfe_u32 s2, ttmp6, 0x40010
	s_bfe_u32 s3, ttmp6, 0x40004
	s_add_co_i32 s2, s2, 1
	s_getreg_b32 s12, hwreg(HW_REG_IB_STS2, 6, 4)
	s_mul_i32 s2, ttmp7, s2
	s_delay_alu instid0(SALU_CYCLE_1) | instskip(SKIP_2) | instid1(SALU_CYCLE_1)
	s_add_co_i32 s3, s3, s2
	s_cmp_eq_u32 s12, 0
	s_cselect_b32 s16, ttmp7, s3
	s_ashr_i32 s17, s16, 31
	s_delay_alu instid0(SALU_CYCLE_1)
	s_lshl_b64 s[2:3], s[16:17], 2
	s_wait_kmcnt 0x0
	s_add_nc_u64 s[4:5], s[4:5], s[2:3]
	s_load_b64 s[2:3], s[0:1], 0x0
	s_load_b32 s18, s[4:5], 0x0
	s_wait_kmcnt 0x0
	s_cmp_le_i32 s18, s3
	s_cbranch_scc1 .LBB22_4
; %bb.1:
	s_mov_b32 s12, exec_lo
	v_cmpx_eq_u32_e32 0, v0
	s_cbranch_execz .LBB22_3
; %bb.2:
	v_dual_mov_b32 v1, 0 :: v_dual_mov_b32 v2, s3
	global_store_b32 v1, v2, s[4:5]
.LBB22_3:
	s_wait_xcnt 0x0
	s_or_b32 exec_lo, exec_lo, s12
	s_mov_b32 s18, s3
.LBB22_4:
	s_load_b128 s[12:15], s[0:1], 0x30
	s_mul_i32 s4, s16, s3
	s_delay_alu instid0(SALU_CYCLE_1) | instskip(NEXT) | instid1(SALU_CYCLE_1)
	s_lshl_b32 s4, s4, 1
	s_ashr_i32 s5, s4, 31
	s_delay_alu instid0(SALU_CYCLE_1)
	s_lshl_b64 s[4:5], s[4:5], 3
	s_wait_kmcnt 0x0
	s_add_nc_u64 s[4:5], s[14:15], s[4:5]
	s_mov_b32 s14, exec_lo
	v_cmpx_gt_i32_e64 s18, v0
	s_cbranch_execz .LBB22_7
; %bb.5:
	s_load_b32 s15, s[0:1], 0x4c
	s_mul_u64 s[8:9], s[8:9], s[16:17]
	v_mov_b32_e32 v1, v0
	s_lshl_b64 s[8:9], s[8:9], 3
	s_delay_alu instid0(SALU_CYCLE_1)
	s_add_nc_u64 s[6:7], s[6:7], s[8:9]
	s_mov_b32 s9, 0
	s_wait_kmcnt 0x0
	s_and_b32 s8, s15, 0xffff
.LBB22_6:                               ; =>This Inner Loop Header: Depth=1
	global_load_b64 v[2:3], v1, s[4:5] scale_offset
	s_wait_loadcnt 0x0
	v_xor_b32_e32 v3, 0x80000000, v3
	global_store_b64 v1, v[2:3], s[6:7] scale_offset
	s_wait_xcnt 0x0
	v_add_nc_u32_e32 v1, s8, v1
	s_delay_alu instid0(VALU_DEP_1) | instskip(SKIP_1) | instid1(SALU_CYCLE_1)
	v_cmp_le_i32_e32 vcc_lo, s18, v1
	s_or_b32 s9, vcc_lo, s9
	s_and_not1_b32 exec_lo, exec_lo, s9
	s_cbranch_execnz .LBB22_6
.LBB22_7:
	s_or_b32 exec_lo, exec_lo, s14
	s_cmp_lt_i32 s18, 1
	s_wait_storecnt 0x0
	s_barrier_signal -1
	s_barrier_wait -1
	s_cbranch_scc1 .LBB22_23
; %bb.8:
	s_load_b64 s[6:7], s[0:1], 0x28
	s_mul_u64 s[14:15], s[12:13], s[16:17]
	s_lshl_b32 s12, s3, 1
	s_lshl_b64 s[14:15], s[14:15], 3
	s_add_nc_u64 s[8:9], s[0:1], 64
	s_wait_xcnt 0x0
	v_cmp_gt_i32_e64 s0, s3, v0
	v_lshlrev_b32_e32 v1, 1, v0
	v_cmp_gt_i32_e64 s1, s12, v0
	s_add_nc_u64 s[10:11], s[10:11], s[14:15]
	s_mov_b32 s13, s3
	s_wait_kmcnt 0x0
	s_ashr_i32 s17, s6, 31
	s_mov_b32 s16, s6
	s_mov_b32 s6, 0
	s_lshl_b64 s[14:15], s[16:17], 3
	s_cmp_lg_u32 s2, 0x79
	s_add_nc_u64 s[10:11], s[10:11], s[14:15]
	s_cselect_b32 s2, -1, 0
	s_mov_b32 s14, 0
	s_branch .LBB22_11
.LBB22_9:                               ;   in Loop: Header=BB22_11 Depth=1
	s_or_b32 exec_lo, exec_lo, s15
.LBB22_10:                              ;   in Loop: Header=BB22_11 Depth=1
	s_add_co_i32 s14, s14, 1
	s_add_co_i32 s6, s6, s7
	;; [unrolled: 1-line block ×3, first 2 shown]
	s_cmp_lg_u32 s14, s18
	s_wait_storecnt 0x0
	s_barrier_signal -1
	s_barrier_wait -1
	s_cbranch_scc0 .LBB22_23
.LBB22_11:                              ; =>This Loop Header: Depth=1
                                        ;     Child Loop BB22_13 Depth 2
                                        ;     Child Loop BB22_17 Depth 2
	;; [unrolled: 1-line block ×3, first 2 shown]
	s_and_saveexec_b32 s15, s1
	s_cbranch_execz .LBB22_14
; %bb.12:                               ;   in Loop: Header=BB22_11 Depth=1
	s_load_b32 s16, s[8:9], 0xc
	v_mov_b32_e32 v2, v0
	s_mov_b32 s17, 0
	s_wait_kmcnt 0x0
	s_and_b32 s16, s16, 0xffff
.LBB22_13:                              ;   Parent Loop BB22_11 Depth=1
                                        ; =>  This Inner Loop Header: Depth=2
	s_delay_alu instid0(VALU_DEP_1)
	v_add_nc_u32_e32 v3, s6, v2
	global_load_b64 v[4:5], v3, s[10:11] scale_offset
	s_wait_loadcnt 0x0
	global_store_b64 v2, v[4:5], s[4:5] scale_offset
	s_wait_xcnt 0x0
	v_add_nc_u32_e32 v2, s16, v2
	s_delay_alu instid0(VALU_DEP_1) | instskip(SKIP_1) | instid1(SALU_CYCLE_1)
	v_cmp_le_i32_e32 vcc_lo, s12, v2
	s_or_b32 s17, vcc_lo, s17
	s_and_not1_b32 exec_lo, exec_lo, s17
	s_cbranch_execnz .LBB22_13
.LBB22_14:                              ;   in Loop: Header=BB22_11 Depth=1
	s_or_b32 exec_lo, exec_lo, s15
	s_delay_alu instid0(SALU_CYCLE_1)
	s_and_not1_b32 vcc_lo, exec_lo, s2
	s_mov_b32 s15, -1
	s_wait_storecnt 0x0
	s_barrier_signal -1
	s_barrier_wait -1
	s_cbranch_vccnz .LBB22_19
; %bb.15:                               ;   in Loop: Header=BB22_11 Depth=1
	s_and_saveexec_b32 s15, s0
	s_cbranch_execz .LBB22_18
; %bb.16:                               ;   in Loop: Header=BB22_11 Depth=1
	s_load_b32 s16, s[8:9], 0xc
	v_dual_mov_b32 v2, v1 :: v_dual_mov_b32 v3, v0
	s_mov_b32 s19, 0
	s_wait_kmcnt 0x0
	s_and_b32 s16, s16, 0xffff
	s_delay_alu instid0(SALU_CYCLE_1)
	s_lshl_b32 s17, s16, 1
.LBB22_17:                              ;   Parent Loop BB22_11 Depth=1
                                        ; =>  This Inner Loop Header: Depth=2
	global_load_b64 v[4:5], v2, s[4:5] scale_offset
	v_add_nc_u32_e32 v6, s6, v3
	s_wait_loadcnt 0x0
	v_mul_f64_e32 v[4:5], 0x3ff6a09e667f3bcd, v[4:5]
	global_store_b64 v6, v[4:5], s[10:11] scale_offset
	global_load_b64 v[4:5], v2, s[4:5] offset:8 scale_offset
	s_wait_xcnt 0x0
	v_dual_add_nc_u32 v6, s13, v3 :: v_dual_add_nc_u32 v2, s17, v2
	v_add_nc_u32_e32 v3, s16, v3
	s_delay_alu instid0(VALU_DEP_1)
	v_cmp_le_i32_e32 vcc_lo, s3, v3
	s_or_b32 s19, vcc_lo, s19
	s_wait_loadcnt 0x0
	v_mul_f64_e32 v[4:5], 0xbff6a09e667f3bcd, v[4:5]
	global_store_b64 v6, v[4:5], s[10:11] scale_offset
	s_wait_xcnt 0x0
	s_and_not1_b32 exec_lo, exec_lo, s19
	s_cbranch_execnz .LBB22_17
.LBB22_18:                              ;   in Loop: Header=BB22_11 Depth=1
	s_or_b32 exec_lo, exec_lo, s15
	s_mov_b32 s15, 0
.LBB22_19:                              ;   in Loop: Header=BB22_11 Depth=1
	s_delay_alu instid0(SALU_CYCLE_1)
	s_and_not1_b32 vcc_lo, exec_lo, s15
	s_cbranch_vccnz .LBB22_10
; %bb.20:                               ;   in Loop: Header=BB22_11 Depth=1
	s_and_saveexec_b32 s15, s0
	s_cbranch_execz .LBB22_9
; %bb.21:                               ;   in Loop: Header=BB22_11 Depth=1
	s_load_b32 s16, s[8:9], 0xc
	v_dual_mov_b32 v2, v1 :: v_dual_mov_b32 v3, v0
	s_mov_b32 s19, 0
	s_wait_kmcnt 0x0
	s_and_b32 s16, s16, 0xffff
	s_delay_alu instid0(SALU_CYCLE_1)
	s_lshl_b32 s17, s16, 1
.LBB22_22:                              ;   Parent Loop BB22_11 Depth=1
                                        ; =>  This Inner Loop Header: Depth=2
	global_load_b64 v[4:5], v2, s[4:5] offset:8 scale_offset
	v_add_nc_u32_e32 v6, s6, v3
	s_wait_loadcnt 0x0
	v_mul_f64_e32 v[4:5], 0x3ff6a09e667f3bcd, v[4:5]
	global_store_b64 v6, v[4:5], s[10:11] scale_offset
	global_load_b64 v[4:5], v2, s[4:5] scale_offset
	s_wait_xcnt 0x0
	v_dual_add_nc_u32 v6, s13, v3 :: v_dual_add_nc_u32 v2, s17, v2
	v_add_nc_u32_e32 v3, s16, v3
	s_delay_alu instid0(VALU_DEP_1)
	v_cmp_le_i32_e32 vcc_lo, s3, v3
	s_or_b32 s19, vcc_lo, s19
	s_wait_loadcnt 0x0
	v_mul_f64_e32 v[4:5], 0xbff6a09e667f3bcd, v[4:5]
	global_store_b64 v6, v[4:5], s[10:11] scale_offset
	s_wait_xcnt 0x0
	s_and_not1_b32 exec_lo, exec_lo, s19
	s_cbranch_execnz .LBB22_22
	s_branch .LBB22_9
.LBB22_23:
	s_endpgm
	.section	.rodata,"a",@progbits
	.p2align	6, 0x0
	.amdhsa_kernel _ZN9rocsolver6v33100L19bdsvdx_reorder_vectIdPdEEv13rocblas_fill_iPiPT_lT0_iilS6_
		.amdhsa_group_segment_fixed_size 0
		.amdhsa_private_segment_fixed_size 0
		.amdhsa_kernarg_size 320
		.amdhsa_user_sgpr_count 2
		.amdhsa_user_sgpr_dispatch_ptr 0
		.amdhsa_user_sgpr_queue_ptr 0
		.amdhsa_user_sgpr_kernarg_segment_ptr 1
		.amdhsa_user_sgpr_dispatch_id 0
		.amdhsa_user_sgpr_kernarg_preload_length 0
		.amdhsa_user_sgpr_kernarg_preload_offset 0
		.amdhsa_user_sgpr_private_segment_size 0
		.amdhsa_wavefront_size32 1
		.amdhsa_uses_dynamic_stack 0
		.amdhsa_enable_private_segment 0
		.amdhsa_system_sgpr_workgroup_id_x 1
		.amdhsa_system_sgpr_workgroup_id_y 1
		.amdhsa_system_sgpr_workgroup_id_z 0
		.amdhsa_system_sgpr_workgroup_info 0
		.amdhsa_system_vgpr_workitem_id 0
		.amdhsa_next_free_vgpr 7
		.amdhsa_next_free_sgpr 20
		.amdhsa_named_barrier_count 0
		.amdhsa_reserve_vcc 1
		.amdhsa_float_round_mode_32 0
		.amdhsa_float_round_mode_16_64 0
		.amdhsa_float_denorm_mode_32 3
		.amdhsa_float_denorm_mode_16_64 3
		.amdhsa_fp16_overflow 0
		.amdhsa_memory_ordered 1
		.amdhsa_forward_progress 1
		.amdhsa_inst_pref_size 8
		.amdhsa_round_robin_scheduling 0
		.amdhsa_exception_fp_ieee_invalid_op 0
		.amdhsa_exception_fp_denorm_src 0
		.amdhsa_exception_fp_ieee_div_zero 0
		.amdhsa_exception_fp_ieee_overflow 0
		.amdhsa_exception_fp_ieee_underflow 0
		.amdhsa_exception_fp_ieee_inexact 0
		.amdhsa_exception_int_div_zero 0
	.end_amdhsa_kernel
	.section	.text._ZN9rocsolver6v33100L19bdsvdx_reorder_vectIdPdEEv13rocblas_fill_iPiPT_lT0_iilS6_,"axG",@progbits,_ZN9rocsolver6v33100L19bdsvdx_reorder_vectIdPdEEv13rocblas_fill_iPiPT_lT0_iilS6_,comdat
.Lfunc_end22:
	.size	_ZN9rocsolver6v33100L19bdsvdx_reorder_vectIdPdEEv13rocblas_fill_iPiPT_lT0_iilS6_, .Lfunc_end22-_ZN9rocsolver6v33100L19bdsvdx_reorder_vectIdPdEEv13rocblas_fill_iPiPT_lT0_iilS6_
                                        ; -- End function
	.set _ZN9rocsolver6v33100L19bdsvdx_reorder_vectIdPdEEv13rocblas_fill_iPiPT_lT0_iilS6_.num_vgpr, 7
	.set _ZN9rocsolver6v33100L19bdsvdx_reorder_vectIdPdEEv13rocblas_fill_iPiPT_lT0_iilS6_.num_agpr, 0
	.set _ZN9rocsolver6v33100L19bdsvdx_reorder_vectIdPdEEv13rocblas_fill_iPiPT_lT0_iilS6_.numbered_sgpr, 20
	.set _ZN9rocsolver6v33100L19bdsvdx_reorder_vectIdPdEEv13rocblas_fill_iPiPT_lT0_iilS6_.num_named_barrier, 0
	.set _ZN9rocsolver6v33100L19bdsvdx_reorder_vectIdPdEEv13rocblas_fill_iPiPT_lT0_iilS6_.private_seg_size, 0
	.set _ZN9rocsolver6v33100L19bdsvdx_reorder_vectIdPdEEv13rocblas_fill_iPiPT_lT0_iilS6_.uses_vcc, 1
	.set _ZN9rocsolver6v33100L19bdsvdx_reorder_vectIdPdEEv13rocblas_fill_iPiPT_lT0_iilS6_.uses_flat_scratch, 0
	.set _ZN9rocsolver6v33100L19bdsvdx_reorder_vectIdPdEEv13rocblas_fill_iPiPT_lT0_iilS6_.has_dyn_sized_stack, 0
	.set _ZN9rocsolver6v33100L19bdsvdx_reorder_vectIdPdEEv13rocblas_fill_iPiPT_lT0_iilS6_.has_recursion, 0
	.set _ZN9rocsolver6v33100L19bdsvdx_reorder_vectIdPdEEv13rocblas_fill_iPiPT_lT0_iilS6_.has_indirect_call, 0
	.section	.AMDGPU.csdata,"",@progbits
; Kernel info:
; codeLenInByte = 980
; TotalNumSgprs: 22
; NumVgprs: 7
; ScratchSize: 0
; MemoryBound: 0
; FloatMode: 240
; IeeeMode: 1
; LDSByteSize: 0 bytes/workgroup (compile time only)
; SGPRBlocks: 0
; VGPRBlocks: 0
; NumSGPRsForWavesPerEU: 22
; NumVGPRsForWavesPerEU: 7
; NamedBarCnt: 0
; Occupancy: 16
; WaveLimiterHint : 0
; COMPUTE_PGM_RSRC2:SCRATCH_EN: 0
; COMPUTE_PGM_RSRC2:USER_SGPR: 2
; COMPUTE_PGM_RSRC2:TRAP_HANDLER: 0
; COMPUTE_PGM_RSRC2:TGID_X_EN: 1
; COMPUTE_PGM_RSRC2:TGID_Y_EN: 1
; COMPUTE_PGM_RSRC2:TGID_Z_EN: 0
; COMPUTE_PGM_RSRC2:TIDIG_COMP_CNT: 0
	.text
	.p2alignl 7, 3214868480
	.fill 96, 4, 3214868480
	.section	.AMDGPU.gpr_maximums,"",@progbits
	.set amdgpu.max_num_vgpr, 55
	.set amdgpu.max_num_agpr, 0
	.set amdgpu.max_num_sgpr, 34
	.text
	.type	__const.__assert_fail.fmt,@object ; @__const.__assert_fail.fmt
	.section	.rodata.str1.16,"aMS",@progbits,1
	.p2align	4, 0x0
__const.__assert_fail.fmt:
	.asciz	"%s:%u: %s: Device-side assertion `%s' failed.\n"
	.size	__const.__assert_fail.fmt, 47

	.type	.str.4,@object                  ; @.str.4
	.section	.rodata.str1.1,"aMS",@progbits,1
.str.4:
	.asciz	"nev <= n"
	.size	.str.4, 9

	.type	.str.5,@object                  ; @.str.5
.str.5:
	.asciz	"/root/src/amdgpu-assembly/repos/ROCm__rocSOLVER/library/src/lapack/roclapack_syevx_heevx.hpp"
	.size	.str.5, 93

	.type	__PRETTY_FUNCTION__._ZN9rocsolver6v33100L15syevx_sort_eigsIffPfEEviPiPT0_lT1_iilS3_lS3_S3_,@object ; @__PRETTY_FUNCTION__._ZN9rocsolver6v33100L15syevx_sort_eigsIffPfEEviPiPT0_lT1_iilS3_lS3_S3_
__PRETTY_FUNCTION__._ZN9rocsolver6v33100L15syevx_sort_eigsIffPfEEviPiPT0_lT1_iilS3_lS3_S3_:
	.asciz	"void rocsolver::syevx_sort_eigs(const rocblas_int, rocblas_int *, S *, const rocblas_stride, U, const rocblas_int, const rocblas_int, const rocblas_stride, rocblas_int *, const rocblas_stride, rocblas_int *, rocblas_int *) [T = float, S = float, U = float *]"
	.size	__PRETTY_FUNCTION__._ZN9rocsolver6v33100L15syevx_sort_eigsIffPfEEviPiPT0_lT1_iilS3_lS3_S3_, 259

	.type	.str.6,@object                  ; @.str.6
.str.6:
	.asciz	"isplit_map != nullptr"
	.size	.str.6, 22

	.type	__const._ZN9rocsolver6v33100L20shell_sort_ascendingIfiEEvT0_PT_PS2_.gaps,@object ; @__const._ZN9rocsolver6v33100L20shell_sort_ascendingIfiEEvT0_PT_PS2_.gaps
	.section	.rodata.cst32,"aM",@progbits,32
	.p2align	4, 0x0
__const._ZN9rocsolver6v33100L20shell_sort_ascendingIfiEEvT0_PT_PS2_.gaps:
	.long	701                             ; 0x2bd
	.long	301                             ; 0x12d
	;; [unrolled: 1-line block ×3, first 2 shown]
	.long	57                              ; 0x39
	.long	23                              ; 0x17
	;; [unrolled: 1-line block ×3, first 2 shown]
	.long	4                               ; 0x4
	.long	1                               ; 0x1
	.size	__const._ZN9rocsolver6v33100L20shell_sort_ascendingIfiEEvT0_PT_PS2_.gaps, 32

	.type	.str.7,@object                  ; @.str.7
	.section	.rodata.str1.1,"aMS",@progbits,1
.str.7:
	.asciz	"std::isnan(a[k]) || std::isnan(a[k + 1]) || a[k] <= a[k + 1]"
	.size	.str.7, 61

	.type	.str.8,@object                  ; @.str.8
.str.8:
	.asciz	"/root/src/amdgpu-assembly/repos/ROCm__rocSOLVER/library/src/include/lib_device_helpers.hpp"
	.size	.str.8, 91

	.type	__PRETTY_FUNCTION__._ZN9rocsolver6v33100L20shell_sort_ascendingIfiEEvT0_PT_PS2_,@object ; @__PRETTY_FUNCTION__._ZN9rocsolver6v33100L20shell_sort_ascendingIfiEEvT0_PT_PS2_
__PRETTY_FUNCTION__._ZN9rocsolver6v33100L20shell_sort_ascendingIfiEEvT0_PT_PS2_:
	.asciz	"void rocsolver::shell_sort_ascending(const I, S *, I *) [S = float, I = int]"
	.size	__PRETTY_FUNCTION__._ZN9rocsolver6v33100L20shell_sort_ascendingIfiEEvT0_PT_PS2_, 77

	.type	.str.10,@object                 ; @.str.10
.str.10:
	.asciz	"map[k] == k"
	.size	.str.10, 12

	.type	__PRETTY_FUNCTION__._ZN9rocsolver6v33100L18syevx_permute_swapIfEEviiiPiPT_iS2_,@object ; @__PRETTY_FUNCTION__._ZN9rocsolver6v33100L18syevx_permute_swapIfEEviiiPiPT_iS2_
__PRETTY_FUNCTION__._ZN9rocsolver6v33100L18syevx_permute_swapIfEEviiiPiPT_iS2_:
	.asciz	"void rocsolver::syevx_permute_swap(rocblas_int, rocblas_int, rocblas_int, rocblas_int *, T *, rocblas_int, rocblas_int *) [T = float]"
	.size	__PRETTY_FUNCTION__._ZN9rocsolver6v33100L18syevx_permute_swapIfEEviiiPiPT_iS2_, 134

	.type	__PRETTY_FUNCTION__._ZN9rocsolver6v33100L15syevx_sort_eigsIddPdEEviPiPT0_lT1_iilS3_lS3_S3_,@object ; @__PRETTY_FUNCTION__._ZN9rocsolver6v33100L15syevx_sort_eigsIddPdEEviPiPT0_lT1_iilS3_lS3_S3_
__PRETTY_FUNCTION__._ZN9rocsolver6v33100L15syevx_sort_eigsIddPdEEviPiPT0_lT1_iilS3_lS3_S3_:
	.asciz	"void rocsolver::syevx_sort_eigs(const rocblas_int, rocblas_int *, S *, const rocblas_stride, U, const rocblas_int, const rocblas_int, const rocblas_stride, rocblas_int *, const rocblas_stride, rocblas_int *, rocblas_int *) [T = double, S = double, U = double *]"
	.size	__PRETTY_FUNCTION__._ZN9rocsolver6v33100L15syevx_sort_eigsIddPdEEviPiPT0_lT1_iilS3_lS3_S3_, 262

	.type	__const._ZN9rocsolver6v33100L20shell_sort_ascendingIdiEEvT0_PT_PS2_.gaps,@object ; @__const._ZN9rocsolver6v33100L20shell_sort_ascendingIdiEEvT0_PT_PS2_.gaps
	.section	.rodata.cst32,"aM",@progbits,32
	.p2align	4, 0x0
__const._ZN9rocsolver6v33100L20shell_sort_ascendingIdiEEvT0_PT_PS2_.gaps:
	.long	701                             ; 0x2bd
	.long	301                             ; 0x12d
	;; [unrolled: 1-line block ×3, first 2 shown]
	.long	57                              ; 0x39
	.long	23                              ; 0x17
	;; [unrolled: 1-line block ×3, first 2 shown]
	.long	4                               ; 0x4
	.long	1                               ; 0x1
	.size	__const._ZN9rocsolver6v33100L20shell_sort_ascendingIdiEEvT0_PT_PS2_.gaps, 32

	.type	__PRETTY_FUNCTION__._ZN9rocsolver6v33100L20shell_sort_ascendingIdiEEvT0_PT_PS2_,@object ; @__PRETTY_FUNCTION__._ZN9rocsolver6v33100L20shell_sort_ascendingIdiEEvT0_PT_PS2_
	.section	.rodata.str1.1,"aMS",@progbits,1
__PRETTY_FUNCTION__._ZN9rocsolver6v33100L20shell_sort_ascendingIdiEEvT0_PT_PS2_:
	.asciz	"void rocsolver::shell_sort_ascending(const I, S *, I *) [S = double, I = int]"
	.size	__PRETTY_FUNCTION__._ZN9rocsolver6v33100L20shell_sort_ascendingIdiEEvT0_PT_PS2_, 78

	.type	__PRETTY_FUNCTION__._ZN9rocsolver6v33100L18syevx_permute_swapIdEEviiiPiPT_iS2_,@object ; @__PRETTY_FUNCTION__._ZN9rocsolver6v33100L18syevx_permute_swapIdEEviiiPiPT_iS2_
__PRETTY_FUNCTION__._ZN9rocsolver6v33100L18syevx_permute_swapIdEEviiiPiPT_iS2_:
	.asciz	"void rocsolver::syevx_permute_swap(rocblas_int, rocblas_int, rocblas_int, rocblas_int *, T *, rocblas_int, rocblas_int *) [T = double]"
	.size	__PRETTY_FUNCTION__._ZN9rocsolver6v33100L18syevx_permute_swapIdEEviiiPiPT_iS2_, 135

	.type	__hip_cuid_160f701d3c5e9c63,@object ; @__hip_cuid_160f701d3c5e9c63
	.section	.bss,"aw",@nobits
	.globl	__hip_cuid_160f701d3c5e9c63
__hip_cuid_160f701d3c5e9c63:
	.byte	0                               ; 0x0
	.size	__hip_cuid_160f701d3c5e9c63, 1

	.ident	"AMD clang version 22.0.0git (https://github.com/RadeonOpenCompute/llvm-project roc-7.2.4 26084 f58b06dce1f9c15707c5f808fd002e18c2accf7e)"
	.section	".note.GNU-stack","",@progbits
	.addrsig
	.addrsig_sym __hip_cuid_160f701d3c5e9c63
	.amdgpu_metadata
---
amdhsa.kernels:
  - .args:
      - .address_space:  global
        .offset:         0
        .size:           8
        .value_kind:     global_buffer
      - .offset:         8
        .size:           4
        .value_kind:     by_value
      - .offset:         12
        .size:           4
        .value_kind:     by_value
      - .offset:         16
        .size:           4
        .value_kind:     by_value
      - .offset:         24
        .size:           4
        .value_kind:     hidden_block_count_x
      - .offset:         28
        .size:           4
        .value_kind:     hidden_block_count_y
      - .offset:         32
        .size:           4
        .value_kind:     hidden_block_count_z
      - .offset:         36
        .size:           2
        .value_kind:     hidden_group_size_x
      - .offset:         38
        .size:           2
        .value_kind:     hidden_group_size_y
      - .offset:         40
        .size:           2
        .value_kind:     hidden_group_size_z
      - .offset:         42
        .size:           2
        .value_kind:     hidden_remainder_x
      - .offset:         44
        .size:           2
        .value_kind:     hidden_remainder_y
      - .offset:         46
        .size:           2
        .value_kind:     hidden_remainder_z
      - .offset:         64
        .size:           8
        .value_kind:     hidden_global_offset_x
      - .offset:         72
        .size:           8
        .value_kind:     hidden_global_offset_y
      - .offset:         80
        .size:           8
        .value_kind:     hidden_global_offset_z
      - .offset:         88
        .size:           2
        .value_kind:     hidden_grid_dims
    .group_segment_fixed_size: 0
    .kernarg_segment_align: 8
    .kernarg_segment_size: 280
    .language:       OpenCL C
    .language_version:
      - 2
      - 0
    .max_flat_workgroup_size: 1024
    .name:           _ZN9rocsolver6v33100L10reset_infoIiiiEEvPT_T0_T1_S4_
    .private_segment_fixed_size: 0
    .sgpr_count:     9
    .sgpr_spill_count: 0
    .symbol:         _ZN9rocsolver6v33100L10reset_infoIiiiEEvPT_T0_T1_S4_.kd
    .uniform_work_group_size: 1
    .uses_dynamic_stack: false
    .vgpr_count:     2
    .vgpr_spill_count: 0
    .wavefront_size: 32
  - .args:
      - .address_space:  global
        .offset:         0
        .size:           8
        .value_kind:     global_buffer
      - .offset:         8
        .size:           4
        .value_kind:     by_value
      - .offset:         12
        .size:           4
        .value_kind:     by_value
      - .offset:         16
        .size:           4
        .value_kind:     by_value
      - .offset:         24
        .size:           4
        .value_kind:     hidden_block_count_x
      - .offset:         28
        .size:           4
        .value_kind:     hidden_block_count_y
      - .offset:         32
        .size:           4
        .value_kind:     hidden_block_count_z
      - .offset:         36
        .size:           2
        .value_kind:     hidden_group_size_x
      - .offset:         38
        .size:           2
        .value_kind:     hidden_group_size_y
      - .offset:         40
        .size:           2
        .value_kind:     hidden_group_size_z
      - .offset:         42
        .size:           2
        .value_kind:     hidden_remainder_x
      - .offset:         44
        .size:           2
        .value_kind:     hidden_remainder_y
      - .offset:         46
        .size:           2
        .value_kind:     hidden_remainder_z
      - .offset:         64
        .size:           8
        .value_kind:     hidden_global_offset_x
      - .offset:         72
        .size:           8
        .value_kind:     hidden_global_offset_y
      - .offset:         80
        .size:           8
        .value_kind:     hidden_global_offset_z
      - .offset:         88
        .size:           2
        .value_kind:     hidden_grid_dims
    .group_segment_fixed_size: 0
    .kernarg_segment_align: 8
    .kernarg_segment_size: 280
    .language:       OpenCL C
    .language_version:
      - 2
      - 0
    .max_flat_workgroup_size: 1024
    .name:           _ZN9rocsolver6v33100L10reset_infoIfiiEEvPT_T0_T1_S4_
    .private_segment_fixed_size: 0
    .sgpr_count:     9
    .sgpr_spill_count: 0
    .symbol:         _ZN9rocsolver6v33100L10reset_infoIfiiEEvPT_T0_T1_S4_.kd
    .uniform_work_group_size: 1
    .uses_dynamic_stack: false
    .vgpr_count:     2
    .vgpr_spill_count: 0
    .wavefront_size: 32
  - .args:
      - .offset:         0
        .size:           4
        .value_kind:     by_value
      - .offset:         4
        .size:           4
        .value_kind:     by_value
      - .address_space:  global
        .offset:         8
        .size:           8
        .value_kind:     global_buffer
      - .offset:         16
        .size:           4
        .value_kind:     by_value
      - .offset:         20
        .size:           4
        .value_kind:     by_value
      - .offset:         24
        .size:           8
        .value_kind:     by_value
      - .address_space:  global
        .offset:         32
        .size:           8
        .value_kind:     global_buffer
      - .offset:         40
        .size:           4
        .value_kind:     by_value
      - .offset:         44
        .size:           4
        .value_kind:     by_value
      - .offset:         48
        .size:           8
        .value_kind:     by_value
      - .offset:         56
        .size:           1
        .value_kind:     by_value
      - .offset:         60
        .size:           4
        .value_kind:     by_value
      - .offset:         64
        .size:           4
        .value_kind:     by_value
      - .offset:         72
        .size:           4
        .value_kind:     hidden_block_count_x
      - .offset:         76
        .size:           4
        .value_kind:     hidden_block_count_y
      - .offset:         80
        .size:           4
        .value_kind:     hidden_block_count_z
      - .offset:         84
        .size:           2
        .value_kind:     hidden_group_size_x
      - .offset:         86
        .size:           2
        .value_kind:     hidden_group_size_y
      - .offset:         88
        .size:           2
        .value_kind:     hidden_group_size_z
      - .offset:         90
        .size:           2
        .value_kind:     hidden_remainder_x
      - .offset:         92
        .size:           2
        .value_kind:     hidden_remainder_y
      - .offset:         94
        .size:           2
        .value_kind:     hidden_remainder_z
      - .offset:         112
        .size:           8
        .value_kind:     hidden_global_offset_x
      - .offset:         120
        .size:           8
        .value_kind:     hidden_global_offset_y
      - .offset:         128
        .size:           8
        .value_kind:     hidden_global_offset_z
      - .offset:         136
        .size:           2
        .value_kind:     hidden_grid_dims
    .group_segment_fixed_size: 0
    .kernarg_segment_align: 8
    .kernarg_segment_size: 328
    .language:       OpenCL C
    .language_version:
      - 2
      - 0
    .max_flat_workgroup_size: 1024
    .name:           _ZN9rocsolver6v33100L8copy_matIfPfS2_NS0_7no_maskEEEviiT0_iilT1_iilT2_13rocblas_fill_17rocblas_diagonal_
    .private_segment_fixed_size: 0
    .sgpr_count:     18
    .sgpr_spill_count: 0
    .symbol:         _ZN9rocsolver6v33100L8copy_matIfPfS2_NS0_7no_maskEEEviiT0_iilT1_iilT2_13rocblas_fill_17rocblas_diagonal_.kd
    .uniform_work_group_size: 1
    .uses_dynamic_stack: false
    .vgpr_count:     3
    .vgpr_spill_count: 0
    .wavefront_size: 32
  - .args:
      - .offset:         0
        .size:           4
        .value_kind:     by_value
      - .offset:         4
        .size:           4
        .value_kind:     by_value
      - .offset:         8
        .size:           4
        .value_kind:     by_value
      - .address_space:  global
        .offset:         16
        .size:           8
        .value_kind:     global_buffer
      - .offset:         24
        .size:           4
        .value_kind:     by_value
      - .offset:         32
        .size:           8
        .value_kind:     by_value
      - .address_space:  global
        .offset:         40
        .size:           8
        .value_kind:     global_buffer
      - .address_space:  global
        .offset:         48
        .size:           8
        .value_kind:     global_buffer
      - .address_space:  global
        .offset:         56
        .size:           8
        .value_kind:     global_buffer
      - .offset:         64
        .size:           8
        .value_kind:     by_value
      - .address_space:  global
        .offset:         72
        .size:           8
        .value_kind:     global_buffer
      - .offset:         80
        .size:           8
        .value_kind:     by_value
      - .address_space:  global
        .offset:         88
        .size:           8
        .value_kind:     global_buffer
      - .offset:         96
        .size:           8
        .value_kind:     by_value
      - .offset:         104
        .size:           4
        .value_kind:     by_value
      - .offset:         112
        .size:           4
        .value_kind:     hidden_block_count_x
      - .offset:         116
        .size:           4
        .value_kind:     hidden_block_count_y
      - .offset:         120
        .size:           4
        .value_kind:     hidden_block_count_z
      - .offset:         124
        .size:           2
        .value_kind:     hidden_group_size_x
      - .offset:         126
        .size:           2
        .value_kind:     hidden_group_size_y
      - .offset:         128
        .size:           2
        .value_kind:     hidden_group_size_z
      - .offset:         130
        .size:           2
        .value_kind:     hidden_remainder_x
      - .offset:         132
        .size:           2
        .value_kind:     hidden_remainder_y
      - .offset:         134
        .size:           2
        .value_kind:     hidden_remainder_z
      - .offset:         152
        .size:           8
        .value_kind:     hidden_global_offset_x
      - .offset:         160
        .size:           8
        .value_kind:     hidden_global_offset_y
      - .offset:         168
        .size:           8
        .value_kind:     hidden_global_offset_z
      - .offset:         176
        .size:           2
        .value_kind:     hidden_grid_dims
    .group_segment_fixed_size: 0
    .kernarg_segment_align: 8
    .kernarg_segment_size: 368
    .language:       OpenCL C
    .language_version:
      - 2
      - 0
    .max_flat_workgroup_size: 1024
    .name:           _ZN9rocsolver6v33100L18stebz_case1_kernelIfPfEEv15rocblas_erange_T_S4_T0_ilPiS6_PS4_lS6_lS6_li
    .private_segment_fixed_size: 0
    .sgpr_count:     25
    .sgpr_spill_count: 0
    .symbol:         _ZN9rocsolver6v33100L18stebz_case1_kernelIfPfEEv15rocblas_erange_T_S4_T0_ilPiS6_PS4_lS6_lS6_li.kd
    .uniform_work_group_size: 1
    .uses_dynamic_stack: false
    .vgpr_count:     8
    .vgpr_spill_count: 0
    .wavefront_size: 32
  - .args:
      - .offset:         0
        .size:           4
        .value_kind:     by_value
      - .offset:         4
        .size:           4
        .value_kind:     by_value
      - .offset:         8
        .size:           4
        .value_kind:     by_value
      - .offset:         12
        .size:           4
        .value_kind:     by_value
      - .offset:         16
        .size:           4
        .value_kind:     by_value
      - .offset:         20
        .size:           4
        .value_kind:     by_value
      - .address_space:  global
        .offset:         24
        .size:           8
        .value_kind:     global_buffer
      - .offset:         32
        .size:           4
        .value_kind:     by_value
      - .offset:         36
        .size:           4
        .value_kind:     by_value
      - .address_space:  global
        .offset:         40
        .size:           8
        .value_kind:     global_buffer
      - .offset:         48
        .size:           4
        .value_kind:     by_value
      - .offset:         52
        .size:           4
        .value_kind:     by_value
      - .address_space:  global
        .offset:         56
        .size:           8
        .value_kind:     global_buffer
      - .address_space:  global
        .offset:         64
        .size:           8
        .value_kind:     global_buffer
      - .offset:         72
        .size:           8
        .value_kind:     by_value
      - .address_space:  global
        .offset:         80
        .size:           8
        .value_kind:     global_buffer
      - .offset:         88
        .size:           8
        .value_kind:     by_value
      - .address_space:  global
        .offset:         96
        .size:           8
        .value_kind:     global_buffer
      - .address_space:  global
        .offset:         104
        .size:           8
        .value_kind:     global_buffer
      - .address_space:  global
        .offset:         112
        .size:           8
        .value_kind:     global_buffer
      - .address_space:  global
        .offset:         120
        .size:           8
        .value_kind:     global_buffer
      - .address_space:  global
        .offset:         128
        .size:           8
        .value_kind:     global_buffer
      - .address_space:  global
        .offset:         136
        .size:           8
        .value_kind:     global_buffer
      - .offset:         144
        .size:           4
        .value_kind:     by_value
      - .offset:         148
        .size:           4
        .value_kind:     by_value
    .group_segment_fixed_size: 2048
    .kernarg_segment_align: 8
    .kernarg_segment_size: 152
    .language:       OpenCL C
    .language_version:
      - 2
      - 0
    .max_flat_workgroup_size: 256
    .name:           _ZN9rocsolver6v33100L22stebz_splitting_kernelIfPfEEv15rocblas_erange_iT_S4_iiT0_iiS5_iiPiPS4_lS6_lS6_S7_S7_S7_S7_S6_S4_S4_
    .private_segment_fixed_size: 0
    .sgpr_count:     56
    .sgpr_spill_count: 0
    .symbol:         _ZN9rocsolver6v33100L22stebz_splitting_kernelIfPfEEv15rocblas_erange_iT_S4_iiT0_iiS5_iiPiPS4_lS6_lS6_S7_S7_S7_S7_S6_S4_S4_.kd
    .uniform_work_group_size: 1
    .uses_dynamic_stack: false
    .vgpr_count:     32
    .vgpr_spill_count: 0
    .wavefront_size: 32
  - .args:
      - .offset:         0
        .size:           4
        .value_kind:     by_value
      - .offset:         4
        .size:           4
        .value_kind:     by_value
      - .offset:         8
        .size:           4
        .value_kind:     by_value
      - .address_space:  global
        .offset:         16
        .size:           8
        .value_kind:     global_buffer
      - .offset:         24
        .size:           4
        .value_kind:     by_value
      - .offset:         28
        .size:           4
        .value_kind:     by_value
      - .address_space:  global
        .offset:         32
        .size:           8
        .value_kind:     global_buffer
      - .offset:         40
        .size:           4
        .value_kind:     by_value
      - .offset:         44
        .size:           4
        .value_kind:     by_value
      - .address_space:  global
        .offset:         48
        .size:           8
        .value_kind:     global_buffer
      - .address_space:  global
        .offset:         56
        .size:           8
        .value_kind:     global_buffer
      - .offset:         64
        .size:           8
        .value_kind:     by_value
      - .address_space:  global
        .offset:         72
        .size:           8
        .value_kind:     global_buffer
      - .offset:         80
        .size:           8
        .value_kind:     by_value
      - .address_space:  global
        .offset:         88
        .size:           8
        .value_kind:     global_buffer
      - .offset:         96
        .size:           8
        .value_kind:     by_value
      - .address_space:  global
        .offset:         104
        .size:           8
        .value_kind:     global_buffer
      - .address_space:  global
        .offset:         112
        .size:           8
        .value_kind:     global_buffer
      - .address_space:  global
        .offset:         120
        .size:           8
        .value_kind:     global_buffer
      - .address_space:  global
        .offset:         128
        .size:           8
        .value_kind:     global_buffer
      - .address_space:  global
        .offset:         136
        .size:           8
        .value_kind:     global_buffer
      - .address_space:  global
        .offset:         144
        .size:           8
        .value_kind:     global_buffer
      - .address_space:  global
        .offset:         152
        .size:           8
        .value_kind:     global_buffer
      - .offset:         160
        .size:           4
        .value_kind:     by_value
      - .offset:         164
        .size:           4
        .value_kind:     by_value
    .group_segment_fixed_size: 4616
    .kernarg_segment_align: 8
    .kernarg_segment_size: 168
    .language:       OpenCL C
    .language_version:
      - 2
      - 0
    .max_flat_workgroup_size: 128
    .name:           _ZN9rocsolver6v33100L22stebz_bisection_kernelIfPfEEv15rocblas_erange_iT_T0_iiS5_iiPiPS4_lS6_lS6_lS6_S6_S7_S7_S7_S7_S6_S4_S4_
    .private_segment_fixed_size: 0
    .sgpr_count:     79
    .sgpr_spill_count: 0
    .symbol:         _ZN9rocsolver6v33100L22stebz_bisection_kernelIfPfEEv15rocblas_erange_iT_T0_iiS5_iiPiPS4_lS6_lS6_lS6_S6_S7_S7_S7_S7_S6_S4_S4_.kd
    .uniform_work_group_size: 1
    .uses_dynamic_stack: false
    .vgpr_count:     22
    .vgpr_spill_count: 0
    .wavefront_size: 32
  - .args:
      - .offset:         0
        .size:           4
        .value_kind:     by_value
      - .offset:         4
        .size:           4
        .value_kind:     by_value
      - .offset:         8
        .size:           4
        .value_kind:     by_value
      - .offset:         12
        .size:           4
        .value_kind:     by_value
      - .offset:         16
        .size:           4
        .value_kind:     by_value
      - .address_space:  global
        .offset:         24
        .size:           8
        .value_kind:     global_buffer
      - .offset:         32
        .size:           4
        .value_kind:     by_value
      - .offset:         36
        .size:           4
        .value_kind:     by_value
      - .address_space:  global
        .offset:         40
        .size:           8
        .value_kind:     global_buffer
      - .address_space:  global
        .offset:         48
        .size:           8
        .value_kind:     global_buffer
      - .address_space:  global
        .offset:         56
        .size:           8
        .value_kind:     global_buffer
      - .offset:         64
        .size:           8
        .value_kind:     by_value
      - .address_space:  global
        .offset:         72
        .size:           8
        .value_kind:     global_buffer
      - .offset:         80
        .size:           8
        .value_kind:     by_value
      - .address_space:  global
        .offset:         88
        .size:           8
        .value_kind:     global_buffer
      - .offset:         96
        .size:           8
        .value_kind:     by_value
      - .offset:         104
        .size:           4
        .value_kind:     by_value
      - .address_space:  global
        .offset:         112
        .size:           8
        .value_kind:     global_buffer
      - .address_space:  global
        .offset:         120
        .size:           8
        .value_kind:     global_buffer
      - .address_space:  global
        .offset:         128
        .size:           8
        .value_kind:     global_buffer
      - .address_space:  global
        .offset:         136
        .size:           8
        .value_kind:     global_buffer
      - .address_space:  global
        .offset:         144
        .size:           8
        .value_kind:     global_buffer
      - .address_space:  global
        .offset:         152
        .size:           8
        .value_kind:     global_buffer
      - .offset:         160
        .size:           4
        .value_kind:     by_value
      - .offset:         168
        .size:           4
        .value_kind:     hidden_block_count_x
      - .offset:         172
        .size:           4
        .value_kind:     hidden_block_count_y
      - .offset:         176
        .size:           4
        .value_kind:     hidden_block_count_z
      - .offset:         180
        .size:           2
        .value_kind:     hidden_group_size_x
      - .offset:         182
        .size:           2
        .value_kind:     hidden_group_size_y
      - .offset:         184
        .size:           2
        .value_kind:     hidden_group_size_z
      - .offset:         186
        .size:           2
        .value_kind:     hidden_remainder_x
      - .offset:         188
        .size:           2
        .value_kind:     hidden_remainder_y
      - .offset:         190
        .size:           2
        .value_kind:     hidden_remainder_z
      - .offset:         208
        .size:           8
        .value_kind:     hidden_global_offset_x
      - .offset:         216
        .size:           8
        .value_kind:     hidden_global_offset_y
      - .offset:         224
        .size:           8
        .value_kind:     hidden_global_offset_z
      - .offset:         232
        .size:           2
        .value_kind:     hidden_grid_dims
    .group_segment_fixed_size: 0
    .kernarg_segment_align: 8
    .kernarg_segment_size: 424
    .language:       OpenCL C
    .language_version:
      - 2
      - 0
    .max_flat_workgroup_size: 1024
    .name:           _ZN9rocsolver6v33100L22stebz_synthesis_kernelIfPfEEv15rocblas_erange_15rocblas_eorder_iiiT0_iiPiS6_PT_lS6_lS6_liS6_S8_S8_S8_S8_S6_S7_
    .private_segment_fixed_size: 0
    .sgpr_count:     36
    .sgpr_spill_count: 0
    .symbol:         _ZN9rocsolver6v33100L22stebz_synthesis_kernelIfPfEEv15rocblas_erange_15rocblas_eorder_iiiT0_iiPiS6_PT_lS6_lS6_liS6_S8_S8_S8_S8_S6_S7_.kd
    .uniform_work_group_size: 1
    .uses_dynamic_stack: false
    .vgpr_count:     42
    .vgpr_spill_count: 0
    .wavefront_size: 32
  - .args:
      - .offset:         0
        .size:           4
        .value_kind:     by_value
      - .address_space:  global
        .offset:         8
        .size:           8
        .value_kind:     global_buffer
      - .address_space:  global
        .offset:         16
        .size:           8
        .value_kind:     global_buffer
      - .offset:         24
        .size:           8
        .value_kind:     by_value
      - .address_space:  global
        .offset:         32
        .size:           8
        .value_kind:     global_buffer
      - .offset:         40
        .size:           4
        .value_kind:     hidden_block_count_x
      - .offset:         44
        .size:           4
        .value_kind:     hidden_block_count_y
      - .offset:         48
        .size:           4
        .value_kind:     hidden_block_count_z
      - .offset:         52
        .size:           2
        .value_kind:     hidden_group_size_x
      - .offset:         54
        .size:           2
        .value_kind:     hidden_group_size_y
      - .offset:         56
        .size:           2
        .value_kind:     hidden_group_size_z
      - .offset:         58
        .size:           2
        .value_kind:     hidden_remainder_x
      - .offset:         60
        .size:           2
        .value_kind:     hidden_remainder_y
      - .offset:         62
        .size:           2
        .value_kind:     hidden_remainder_z
      - .offset:         80
        .size:           8
        .value_kind:     hidden_global_offset_x
      - .offset:         88
        .size:           8
        .value_kind:     hidden_global_offset_y
      - .offset:         96
        .size:           8
        .value_kind:     hidden_global_offset_z
      - .offset:         104
        .size:           2
        .value_kind:     hidden_grid_dims
    .group_segment_fixed_size: 0
    .kernarg_segment_align: 8
    .kernarg_segment_size: 296
    .language:       OpenCL C
    .language_version:
      - 2
      - 0
    .max_flat_workgroup_size: 1024
    .name:           _ZN9rocsolver6v33100L15bdsvdx_abs_eigsIfEEviPiPT_lS4_
    .private_segment_fixed_size: 0
    .sgpr_count:     16
    .sgpr_spill_count: 0
    .symbol:         _ZN9rocsolver6v33100L15bdsvdx_abs_eigsIfEEviPiPT_lS4_.kd
    .uniform_work_group_size: 1
    .uses_dynamic_stack: false
    .vgpr_count:     3
    .vgpr_spill_count: 0
    .wavefront_size: 32
  - .args:
      - .offset:         0
        .size:           4
        .value_kind:     by_value
      - .address_space:  global
        .offset:         8
        .size:           8
        .value_kind:     global_buffer
      - .offset:         16
        .size:           8
        .value_kind:     by_value
      - .address_space:  global
        .offset:         24
        .size:           8
        .value_kind:     global_buffer
      - .offset:         32
        .size:           8
        .value_kind:     by_value
      - .address_space:  global
        .offset:         40
        .size:           8
        .value_kind:     global_buffer
      - .address_space:  global
        .offset:         48
        .size:           8
        .value_kind:     global_buffer
      - .offset:         56
        .size:           8
        .value_kind:     by_value
      - .address_space:  global
        .offset:         64
        .size:           8
        .value_kind:     global_buffer
      - .offset:         72
        .size:           8
        .value_kind:     by_value
      - .address_space:  global
        .offset:         80
        .size:           8
        .value_kind:     global_buffer
      - .offset:         88
        .size:           8
        .value_kind:     by_value
      - .address_space:  global
        .offset:         96
        .size:           8
        .value_kind:     global_buffer
      - .offset:         104
        .size:           4
        .value_kind:     by_value
      - .offset:         108
        .size:           4
        .value_kind:     by_value
      - .offset:         112
        .size:           8
        .value_kind:     by_value
      - .address_space:  global
        .offset:         120
        .size:           8
        .value_kind:     global_buffer
      - .offset:         128
        .size:           8
        .value_kind:     by_value
      - .address_space:  global
        .offset:         136
        .size:           8
        .value_kind:     global_buffer
      - .address_space:  global
        .offset:         144
        .size:           8
        .value_kind:     global_buffer
      - .address_space:  global
        .offset:         152
        .size:           8
        .value_kind:     global_buffer
      - .offset:         160
        .size:           4
        .value_kind:     by_value
      - .offset:         164
        .size:           4
        .value_kind:     by_value
    .group_segment_fixed_size: 8
    .kernarg_segment_align: 8
    .kernarg_segment_size: 168
    .language:       OpenCL C
    .language_version:
      - 2
      - 0
    .max_flat_workgroup_size: 256
    .name:           _ZN9rocsolver6v33100L12stein_kernelIffPfEEviPT0_lS4_lPiS4_lS5_lS5_lT1_iilS5_lS5_S4_S5_S3_S3_
    .private_segment_fixed_size: 0
    .sgpr_count:     107
    .sgpr_spill_count: 8
    .symbol:         _ZN9rocsolver6v33100L12stein_kernelIffPfEEviPT0_lS4_lPiS4_lS5_lS5_lT1_iilS5_lS5_S4_S5_S3_S3_.kd
    .uniform_work_group_size: 1
    .uses_dynamic_stack: false
    .vgpr_count:     45
    .vgpr_spill_count: 0
    .wavefront_size: 32
  - .args:
      - .offset:         0
        .size:           4
        .value_kind:     by_value
      - .address_space:  global
        .offset:         8
        .size:           8
        .value_kind:     global_buffer
      - .address_space:  global
        .offset:         16
        .size:           8
        .value_kind:     global_buffer
      - .offset:         24
        .size:           8
        .value_kind:     by_value
      - .address_space:  global
        .offset:         32
        .size:           8
        .value_kind:     global_buffer
      - .offset:         40
        .size:           4
        .value_kind:     by_value
      - .offset:         44
        .size:           4
        .value_kind:     by_value
      - .offset:         48
        .size:           8
        .value_kind:     by_value
      - .address_space:  global
        .offset:         56
        .size:           8
        .value_kind:     global_buffer
      - .offset:         64
        .size:           8
        .value_kind:     by_value
      - .address_space:  global
        .offset:         72
        .size:           8
        .value_kind:     global_buffer
      - .address_space:  global
        .offset:         80
        .size:           8
        .value_kind:     global_buffer
      - .offset:         88
        .size:           4
        .value_kind:     hidden_block_count_x
      - .offset:         92
        .size:           4
        .value_kind:     hidden_block_count_y
      - .offset:         96
        .size:           4
        .value_kind:     hidden_block_count_z
      - .offset:         100
        .size:           2
        .value_kind:     hidden_group_size_x
      - .offset:         102
        .size:           2
        .value_kind:     hidden_group_size_y
      - .offset:         104
        .size:           2
        .value_kind:     hidden_group_size_z
      - .offset:         106
        .size:           2
        .value_kind:     hidden_remainder_x
      - .offset:         108
        .size:           2
        .value_kind:     hidden_remainder_y
      - .offset:         110
        .size:           2
        .value_kind:     hidden_remainder_z
      - .offset:         128
        .size:           8
        .value_kind:     hidden_global_offset_x
      - .offset:         136
        .size:           8
        .value_kind:     hidden_global_offset_y
      - .offset:         144
        .size:           8
        .value_kind:     hidden_global_offset_z
      - .offset:         152
        .size:           2
        .value_kind:     hidden_grid_dims
      - .offset:         168
        .size:           8
        .value_kind:     hidden_hostcall_buffer
    .group_segment_fixed_size: 0
    .kernarg_segment_align: 8
    .kernarg_segment_size: 344
    .language:       OpenCL C
    .language_version:
      - 2
      - 0
    .max_flat_workgroup_size: 256
    .name:           _ZN9rocsolver6v33100L15syevx_sort_eigsIffPfEEviPiPT0_lT1_iilS3_lS3_S3_
    .private_segment_fixed_size: 64
    .sgpr_count:     47
    .sgpr_spill_count: 0
    .symbol:         _ZN9rocsolver6v33100L15syevx_sort_eigsIffPfEEviPiPT0_lT1_iilS3_lS3_S3_.kd
    .uniform_work_group_size: 1
    .uses_dynamic_stack: false
    .vgpr_count:     55
    .vgpr_spill_count: 0
    .wavefront_size: 32
  - .args:
      - .offset:         0
        .size:           4
        .value_kind:     by_value
      - .offset:         4
        .size:           4
        .value_kind:     by_value
      - .address_space:  global
        .offset:         8
        .size:           8
        .value_kind:     global_buffer
      - .address_space:  global
        .offset:         16
        .size:           8
        .value_kind:     global_buffer
      - .offset:         24
        .size:           8
        .value_kind:     by_value
      - .address_space:  global
        .offset:         32
        .size:           8
        .value_kind:     global_buffer
      - .offset:         40
        .size:           4
        .value_kind:     by_value
      - .offset:         44
        .size:           4
        .value_kind:     by_value
      - .offset:         48
        .size:           8
        .value_kind:     by_value
      - .address_space:  global
        .offset:         56
        .size:           8
        .value_kind:     global_buffer
      - .offset:         64
        .size:           4
        .value_kind:     hidden_block_count_x
      - .offset:         68
        .size:           4
        .value_kind:     hidden_block_count_y
      - .offset:         72
        .size:           4
        .value_kind:     hidden_block_count_z
      - .offset:         76
        .size:           2
        .value_kind:     hidden_group_size_x
      - .offset:         78
        .size:           2
        .value_kind:     hidden_group_size_y
      - .offset:         80
        .size:           2
        .value_kind:     hidden_group_size_z
      - .offset:         82
        .size:           2
        .value_kind:     hidden_remainder_x
      - .offset:         84
        .size:           2
        .value_kind:     hidden_remainder_y
      - .offset:         86
        .size:           2
        .value_kind:     hidden_remainder_z
      - .offset:         104
        .size:           8
        .value_kind:     hidden_global_offset_x
      - .offset:         112
        .size:           8
        .value_kind:     hidden_global_offset_y
      - .offset:         120
        .size:           8
        .value_kind:     hidden_global_offset_z
      - .offset:         128
        .size:           2
        .value_kind:     hidden_grid_dims
    .group_segment_fixed_size: 0
    .kernarg_segment_align: 8
    .kernarg_segment_size: 320
    .language:       OpenCL C
    .language_version:
      - 2
      - 0
    .max_flat_workgroup_size: 1024
    .name:           _ZN9rocsolver6v33100L19bdsvdx_reorder_vectIfPfEEv13rocblas_fill_iPiPT_lT0_iilS6_
    .private_segment_fixed_size: 0
    .sgpr_count:     22
    .sgpr_spill_count: 0
    .symbol:         _ZN9rocsolver6v33100L19bdsvdx_reorder_vectIfPfEEv13rocblas_fill_iPiPT_lT0_iilS6_.kd
    .uniform_work_group_size: 1
    .uses_dynamic_stack: false
    .vgpr_count:     6
    .vgpr_spill_count: 0
    .wavefront_size: 32
  - .args:
      - .address_space:  global
        .offset:         0
        .size:           8
        .value_kind:     global_buffer
      - .offset:         8
        .size:           4
        .value_kind:     by_value
      - .offset:         12
        .size:           4
        .value_kind:     by_value
      - .offset:         16
        .size:           4
        .value_kind:     by_value
      - .offset:         24
        .size:           4
        .value_kind:     hidden_block_count_x
      - .offset:         28
        .size:           4
        .value_kind:     hidden_block_count_y
      - .offset:         32
        .size:           4
        .value_kind:     hidden_block_count_z
      - .offset:         36
        .size:           2
        .value_kind:     hidden_group_size_x
      - .offset:         38
        .size:           2
        .value_kind:     hidden_group_size_y
      - .offset:         40
        .size:           2
        .value_kind:     hidden_group_size_z
      - .offset:         42
        .size:           2
        .value_kind:     hidden_remainder_x
      - .offset:         44
        .size:           2
        .value_kind:     hidden_remainder_y
      - .offset:         46
        .size:           2
        .value_kind:     hidden_remainder_z
      - .offset:         64
        .size:           8
        .value_kind:     hidden_global_offset_x
      - .offset:         72
        .size:           8
        .value_kind:     hidden_global_offset_y
      - .offset:         80
        .size:           8
        .value_kind:     hidden_global_offset_z
      - .offset:         88
        .size:           2
        .value_kind:     hidden_grid_dims
    .group_segment_fixed_size: 0
    .kernarg_segment_align: 8
    .kernarg_segment_size: 280
    .language:       OpenCL C
    .language_version:
      - 2
      - 0
    .max_flat_workgroup_size: 1024
    .name:           _ZN9rocsolver6v33100L10reset_infoIdiiEEvPT_T0_T1_S4_
    .private_segment_fixed_size: 0
    .sgpr_count:     9
    .sgpr_spill_count: 0
    .symbol:         _ZN9rocsolver6v33100L10reset_infoIdiiEEvPT_T0_T1_S4_.kd
    .uniform_work_group_size: 1
    .uses_dynamic_stack: false
    .vgpr_count:     6
    .vgpr_spill_count: 0
    .wavefront_size: 32
  - .args:
      - .offset:         0
        .size:           4
        .value_kind:     by_value
      - .offset:         4
        .size:           4
        .value_kind:     by_value
      - .address_space:  global
        .offset:         8
        .size:           8
        .value_kind:     global_buffer
      - .offset:         16
        .size:           4
        .value_kind:     by_value
      - .offset:         20
        .size:           4
        .value_kind:     by_value
      - .offset:         24
        .size:           8
        .value_kind:     by_value
      - .address_space:  global
        .offset:         32
        .size:           8
        .value_kind:     global_buffer
      - .offset:         40
        .size:           4
        .value_kind:     by_value
      - .offset:         44
        .size:           4
        .value_kind:     by_value
      - .offset:         48
        .size:           8
        .value_kind:     by_value
      - .offset:         56
        .size:           1
        .value_kind:     by_value
      - .offset:         60
        .size:           4
        .value_kind:     by_value
      - .offset:         64
        .size:           4
        .value_kind:     by_value
      - .offset:         72
        .size:           4
        .value_kind:     hidden_block_count_x
      - .offset:         76
        .size:           4
        .value_kind:     hidden_block_count_y
      - .offset:         80
        .size:           4
        .value_kind:     hidden_block_count_z
      - .offset:         84
        .size:           2
        .value_kind:     hidden_group_size_x
      - .offset:         86
        .size:           2
        .value_kind:     hidden_group_size_y
      - .offset:         88
        .size:           2
        .value_kind:     hidden_group_size_z
      - .offset:         90
        .size:           2
        .value_kind:     hidden_remainder_x
      - .offset:         92
        .size:           2
        .value_kind:     hidden_remainder_y
      - .offset:         94
        .size:           2
        .value_kind:     hidden_remainder_z
      - .offset:         112
        .size:           8
        .value_kind:     hidden_global_offset_x
      - .offset:         120
        .size:           8
        .value_kind:     hidden_global_offset_y
      - .offset:         128
        .size:           8
        .value_kind:     hidden_global_offset_z
      - .offset:         136
        .size:           2
        .value_kind:     hidden_grid_dims
    .group_segment_fixed_size: 0
    .kernarg_segment_align: 8
    .kernarg_segment_size: 328
    .language:       OpenCL C
    .language_version:
      - 2
      - 0
    .max_flat_workgroup_size: 1024
    .name:           _ZN9rocsolver6v33100L8copy_matIdPdS2_NS0_7no_maskEEEviiT0_iilT1_iilT2_13rocblas_fill_17rocblas_diagonal_
    .private_segment_fixed_size: 0
    .sgpr_count:     18
    .sgpr_spill_count: 0
    .symbol:         _ZN9rocsolver6v33100L8copy_matIdPdS2_NS0_7no_maskEEEviiT0_iilT1_iilT2_13rocblas_fill_17rocblas_diagonal_.kd
    .uniform_work_group_size: 1
    .uses_dynamic_stack: false
    .vgpr_count:     4
    .vgpr_spill_count: 0
    .wavefront_size: 32
  - .args:
      - .offset:         0
        .size:           4
        .value_kind:     by_value
      - .offset:         8
        .size:           8
        .value_kind:     by_value
      - .offset:         16
        .size:           8
        .value_kind:     by_value
      - .address_space:  global
        .offset:         24
        .size:           8
        .value_kind:     global_buffer
      - .offset:         32
        .size:           4
        .value_kind:     by_value
      - .offset:         40
        .size:           8
        .value_kind:     by_value
      - .address_space:  global
        .offset:         48
        .size:           8
        .value_kind:     global_buffer
      - .address_space:  global
        .offset:         56
        .size:           8
        .value_kind:     global_buffer
      - .address_space:  global
        .offset:         64
        .size:           8
        .value_kind:     global_buffer
      - .offset:         72
        .size:           8
        .value_kind:     by_value
      - .address_space:  global
        .offset:         80
        .size:           8
        .value_kind:     global_buffer
      - .offset:         88
        .size:           8
        .value_kind:     by_value
      - .address_space:  global
        .offset:         96
        .size:           8
        .value_kind:     global_buffer
      - .offset:         104
        .size:           8
        .value_kind:     by_value
      - .offset:         112
        .size:           4
        .value_kind:     by_value
      - .offset:         120
        .size:           4
        .value_kind:     hidden_block_count_x
      - .offset:         124
        .size:           4
        .value_kind:     hidden_block_count_y
      - .offset:         128
        .size:           4
        .value_kind:     hidden_block_count_z
      - .offset:         132
        .size:           2
        .value_kind:     hidden_group_size_x
      - .offset:         134
        .size:           2
        .value_kind:     hidden_group_size_y
      - .offset:         136
        .size:           2
        .value_kind:     hidden_group_size_z
      - .offset:         138
        .size:           2
        .value_kind:     hidden_remainder_x
      - .offset:         140
        .size:           2
        .value_kind:     hidden_remainder_y
      - .offset:         142
        .size:           2
        .value_kind:     hidden_remainder_z
      - .offset:         160
        .size:           8
        .value_kind:     hidden_global_offset_x
      - .offset:         168
        .size:           8
        .value_kind:     hidden_global_offset_y
      - .offset:         176
        .size:           8
        .value_kind:     hidden_global_offset_z
      - .offset:         184
        .size:           2
        .value_kind:     hidden_grid_dims
    .group_segment_fixed_size: 0
    .kernarg_segment_align: 8
    .kernarg_segment_size: 376
    .language:       OpenCL C
    .language_version:
      - 2
      - 0
    .max_flat_workgroup_size: 1024
    .name:           _ZN9rocsolver6v33100L18stebz_case1_kernelIdPdEEv15rocblas_erange_T_S4_T0_ilPiS6_PS4_lS6_lS6_li
    .private_segment_fixed_size: 0
    .sgpr_count:     26
    .sgpr_spill_count: 0
    .symbol:         _ZN9rocsolver6v33100L18stebz_case1_kernelIdPdEEv15rocblas_erange_T_S4_T0_ilPiS6_PS4_lS6_lS6_li.kd
    .uniform_work_group_size: 1
    .uses_dynamic_stack: false
    .vgpr_count:     9
    .vgpr_spill_count: 0
    .wavefront_size: 32
  - .args:
      - .offset:         0
        .size:           4
        .value_kind:     by_value
      - .offset:         4
        .size:           4
        .value_kind:     by_value
      - .offset:         8
        .size:           8
        .value_kind:     by_value
      - .offset:         16
        .size:           8
        .value_kind:     by_value
      - .offset:         24
        .size:           4
        .value_kind:     by_value
      - .offset:         28
        .size:           4
        .value_kind:     by_value
      - .address_space:  global
        .offset:         32
        .size:           8
        .value_kind:     global_buffer
      - .offset:         40
        .size:           4
        .value_kind:     by_value
      - .offset:         44
        .size:           4
        .value_kind:     by_value
      - .address_space:  global
        .offset:         48
        .size:           8
        .value_kind:     global_buffer
      - .offset:         56
        .size:           4
        .value_kind:     by_value
      - .offset:         60
        .size:           4
        .value_kind:     by_value
      - .address_space:  global
        .offset:         64
        .size:           8
        .value_kind:     global_buffer
      - .address_space:  global
        .offset:         72
        .size:           8
        .value_kind:     global_buffer
      - .offset:         80
        .size:           8
        .value_kind:     by_value
      - .address_space:  global
        .offset:         88
        .size:           8
        .value_kind:     global_buffer
      - .offset:         96
        .size:           8
        .value_kind:     by_value
      - .address_space:  global
        .offset:         104
        .size:           8
        .value_kind:     global_buffer
      - .address_space:  global
        .offset:         112
        .size:           8
        .value_kind:     global_buffer
      - .address_space:  global
        .offset:         120
        .size:           8
        .value_kind:     global_buffer
      - .address_space:  global
        .offset:         128
        .size:           8
        .value_kind:     global_buffer
      - .address_space:  global
        .offset:         136
        .size:           8
        .value_kind:     global_buffer
      - .address_space:  global
        .offset:         144
        .size:           8
        .value_kind:     global_buffer
      - .offset:         152
        .size:           8
        .value_kind:     by_value
      - .offset:         160
        .size:           8
        .value_kind:     by_value
    .group_segment_fixed_size: 3072
    .kernarg_segment_align: 8
    .kernarg_segment_size: 168
    .language:       OpenCL C
    .language_version:
      - 2
      - 0
    .max_flat_workgroup_size: 256
    .name:           _ZN9rocsolver6v33100L22stebz_splitting_kernelIdPdEEv15rocblas_erange_iT_S4_iiT0_iiS5_iiPiPS4_lS6_lS6_S7_S7_S7_S7_S6_S4_S4_
    .private_segment_fixed_size: 0
    .sgpr_count:     60
    .sgpr_spill_count: 0
    .symbol:         _ZN9rocsolver6v33100L22stebz_splitting_kernelIdPdEEv15rocblas_erange_iT_S4_iiT0_iiS5_iiPiPS4_lS6_lS6_S7_S7_S7_S7_S6_S4_S4_.kd
    .uniform_work_group_size: 1
    .uses_dynamic_stack: false
    .vgpr_count:     34
    .vgpr_spill_count: 0
    .wavefront_size: 32
  - .args:
      - .offset:         0
        .size:           4
        .value_kind:     by_value
      - .offset:         4
        .size:           4
        .value_kind:     by_value
      - .offset:         8
        .size:           8
        .value_kind:     by_value
      - .address_space:  global
        .offset:         16
        .size:           8
        .value_kind:     global_buffer
      - .offset:         24
        .size:           4
        .value_kind:     by_value
      - .offset:         28
        .size:           4
        .value_kind:     by_value
      - .address_space:  global
        .offset:         32
        .size:           8
        .value_kind:     global_buffer
      - .offset:         40
        .size:           4
        .value_kind:     by_value
      - .offset:         44
        .size:           4
        .value_kind:     by_value
      - .address_space:  global
        .offset:         48
        .size:           8
        .value_kind:     global_buffer
      - .address_space:  global
        .offset:         56
        .size:           8
        .value_kind:     global_buffer
      - .offset:         64
        .size:           8
        .value_kind:     by_value
      - .address_space:  global
        .offset:         72
        .size:           8
        .value_kind:     global_buffer
      - .offset:         80
        .size:           8
        .value_kind:     by_value
      - .address_space:  global
        .offset:         88
        .size:           8
        .value_kind:     global_buffer
      - .offset:         96
        .size:           8
        .value_kind:     by_value
      - .address_space:  global
        .offset:         104
        .size:           8
        .value_kind:     global_buffer
      - .address_space:  global
        .offset:         112
        .size:           8
        .value_kind:     global_buffer
      - .address_space:  global
        .offset:         120
        .size:           8
        .value_kind:     global_buffer
      - .address_space:  global
        .offset:         128
        .size:           8
        .value_kind:     global_buffer
      - .address_space:  global
        .offset:         136
        .size:           8
        .value_kind:     global_buffer
      - .address_space:  global
        .offset:         144
        .size:           8
        .value_kind:     global_buffer
      - .address_space:  global
        .offset:         152
        .size:           8
        .value_kind:     global_buffer
      - .offset:         160
        .size:           8
        .value_kind:     by_value
      - .offset:         168
        .size:           8
        .value_kind:     by_value
    .group_segment_fixed_size: 6664
    .kernarg_segment_align: 8
    .kernarg_segment_size: 176
    .language:       OpenCL C
    .language_version:
      - 2
      - 0
    .max_flat_workgroup_size: 128
    .name:           _ZN9rocsolver6v33100L22stebz_bisection_kernelIdPdEEv15rocblas_erange_iT_T0_iiS5_iiPiPS4_lS6_lS6_lS6_S6_S7_S7_S7_S7_S6_S4_S4_
    .private_segment_fixed_size: 0
    .sgpr_count:     80
    .sgpr_spill_count: 0
    .symbol:         _ZN9rocsolver6v33100L22stebz_bisection_kernelIdPdEEv15rocblas_erange_iT_T0_iiS5_iiPiPS4_lS6_lS6_lS6_S6_S7_S7_S7_S7_S6_S4_S4_.kd
    .uniform_work_group_size: 1
    .uses_dynamic_stack: false
    .vgpr_count:     42
    .vgpr_spill_count: 0
    .wavefront_size: 32
  - .args:
      - .offset:         0
        .size:           4
        .value_kind:     by_value
      - .offset:         4
        .size:           4
        .value_kind:     by_value
      - .offset:         8
        .size:           4
        .value_kind:     by_value
      - .offset:         12
        .size:           4
        .value_kind:     by_value
      - .offset:         16
        .size:           4
        .value_kind:     by_value
      - .address_space:  global
        .offset:         24
        .size:           8
        .value_kind:     global_buffer
      - .offset:         32
        .size:           4
        .value_kind:     by_value
      - .offset:         36
        .size:           4
        .value_kind:     by_value
      - .address_space:  global
        .offset:         40
        .size:           8
        .value_kind:     global_buffer
      - .address_space:  global
        .offset:         48
        .size:           8
        .value_kind:     global_buffer
      - .address_space:  global
        .offset:         56
        .size:           8
        .value_kind:     global_buffer
      - .offset:         64
        .size:           8
        .value_kind:     by_value
      - .address_space:  global
        .offset:         72
        .size:           8
        .value_kind:     global_buffer
      - .offset:         80
        .size:           8
        .value_kind:     by_value
      - .address_space:  global
        .offset:         88
        .size:           8
        .value_kind:     global_buffer
      - .offset:         96
        .size:           8
        .value_kind:     by_value
      - .offset:         104
        .size:           4
        .value_kind:     by_value
      - .address_space:  global
        .offset:         112
        .size:           8
        .value_kind:     global_buffer
      - .address_space:  global
        .offset:         120
        .size:           8
        .value_kind:     global_buffer
      - .address_space:  global
        .offset:         128
        .size:           8
        .value_kind:     global_buffer
      - .address_space:  global
        .offset:         136
        .size:           8
        .value_kind:     global_buffer
      - .address_space:  global
        .offset:         144
        .size:           8
        .value_kind:     global_buffer
      - .address_space:  global
        .offset:         152
        .size:           8
        .value_kind:     global_buffer
      - .offset:         160
        .size:           8
        .value_kind:     by_value
      - .offset:         168
        .size:           4
        .value_kind:     hidden_block_count_x
      - .offset:         172
        .size:           4
        .value_kind:     hidden_block_count_y
      - .offset:         176
        .size:           4
        .value_kind:     hidden_block_count_z
      - .offset:         180
        .size:           2
        .value_kind:     hidden_group_size_x
      - .offset:         182
        .size:           2
        .value_kind:     hidden_group_size_y
      - .offset:         184
        .size:           2
        .value_kind:     hidden_group_size_z
      - .offset:         186
        .size:           2
        .value_kind:     hidden_remainder_x
      - .offset:         188
        .size:           2
        .value_kind:     hidden_remainder_y
      - .offset:         190
        .size:           2
        .value_kind:     hidden_remainder_z
      - .offset:         208
        .size:           8
        .value_kind:     hidden_global_offset_x
      - .offset:         216
        .size:           8
        .value_kind:     hidden_global_offset_y
      - .offset:         224
        .size:           8
        .value_kind:     hidden_global_offset_z
      - .offset:         232
        .size:           2
        .value_kind:     hidden_grid_dims
    .group_segment_fixed_size: 0
    .kernarg_segment_align: 8
    .kernarg_segment_size: 424
    .language:       OpenCL C
    .language_version:
      - 2
      - 0
    .max_flat_workgroup_size: 1024
    .name:           _ZN9rocsolver6v33100L22stebz_synthesis_kernelIdPdEEv15rocblas_erange_15rocblas_eorder_iiiT0_iiPiS6_PT_lS6_lS6_liS6_S8_S8_S8_S8_S6_S7_
    .private_segment_fixed_size: 0
    .sgpr_count:     34
    .sgpr_spill_count: 0
    .symbol:         _ZN9rocsolver6v33100L22stebz_synthesis_kernelIdPdEEv15rocblas_erange_15rocblas_eorder_iiiT0_iiPiS6_PT_lS6_lS6_liS6_S8_S8_S8_S8_S6_S7_.kd
    .uniform_work_group_size: 1
    .uses_dynamic_stack: false
    .vgpr_count:     50
    .vgpr_spill_count: 0
    .wavefront_size: 32
  - .args:
      - .offset:         0
        .size:           4
        .value_kind:     by_value
      - .address_space:  global
        .offset:         8
        .size:           8
        .value_kind:     global_buffer
      - .address_space:  global
        .offset:         16
        .size:           8
        .value_kind:     global_buffer
      - .offset:         24
        .size:           8
        .value_kind:     by_value
      - .address_space:  global
        .offset:         32
        .size:           8
        .value_kind:     global_buffer
      - .offset:         40
        .size:           4
        .value_kind:     hidden_block_count_x
      - .offset:         44
        .size:           4
        .value_kind:     hidden_block_count_y
      - .offset:         48
        .size:           4
        .value_kind:     hidden_block_count_z
      - .offset:         52
        .size:           2
        .value_kind:     hidden_group_size_x
      - .offset:         54
        .size:           2
        .value_kind:     hidden_group_size_y
      - .offset:         56
        .size:           2
        .value_kind:     hidden_group_size_z
      - .offset:         58
        .size:           2
        .value_kind:     hidden_remainder_x
      - .offset:         60
        .size:           2
        .value_kind:     hidden_remainder_y
      - .offset:         62
        .size:           2
        .value_kind:     hidden_remainder_z
      - .offset:         80
        .size:           8
        .value_kind:     hidden_global_offset_x
      - .offset:         88
        .size:           8
        .value_kind:     hidden_global_offset_y
      - .offset:         96
        .size:           8
        .value_kind:     hidden_global_offset_z
      - .offset:         104
        .size:           2
        .value_kind:     hidden_grid_dims
    .group_segment_fixed_size: 0
    .kernarg_segment_align: 8
    .kernarg_segment_size: 296
    .language:       OpenCL C
    .language_version:
      - 2
      - 0
    .max_flat_workgroup_size: 1024
    .name:           _ZN9rocsolver6v33100L15bdsvdx_abs_eigsIdEEviPiPT_lS4_
    .private_segment_fixed_size: 0
    .sgpr_count:     16
    .sgpr_spill_count: 0
    .symbol:         _ZN9rocsolver6v33100L15bdsvdx_abs_eigsIdEEviPiPT_lS4_.kd
    .uniform_work_group_size: 1
    .uses_dynamic_stack: false
    .vgpr_count:     4
    .vgpr_spill_count: 0
    .wavefront_size: 32
  - .args:
      - .offset:         0
        .size:           4
        .value_kind:     by_value
      - .address_space:  global
        .offset:         8
        .size:           8
        .value_kind:     global_buffer
      - .offset:         16
        .size:           8
        .value_kind:     by_value
      - .address_space:  global
        .offset:         24
        .size:           8
        .value_kind:     global_buffer
      - .offset:         32
        .size:           8
        .value_kind:     by_value
      - .address_space:  global
        .offset:         40
        .size:           8
        .value_kind:     global_buffer
      - .address_space:  global
        .offset:         48
        .size:           8
        .value_kind:     global_buffer
      - .offset:         56
        .size:           8
        .value_kind:     by_value
      - .address_space:  global
        .offset:         64
        .size:           8
        .value_kind:     global_buffer
      - .offset:         72
        .size:           8
        .value_kind:     by_value
      - .address_space:  global
        .offset:         80
        .size:           8
        .value_kind:     global_buffer
      - .offset:         88
        .size:           8
        .value_kind:     by_value
      - .address_space:  global
        .offset:         96
        .size:           8
        .value_kind:     global_buffer
      - .offset:         104
        .size:           4
        .value_kind:     by_value
      - .offset:         108
        .size:           4
        .value_kind:     by_value
      - .offset:         112
        .size:           8
        .value_kind:     by_value
      - .address_space:  global
        .offset:         120
        .size:           8
        .value_kind:     global_buffer
      - .offset:         128
        .size:           8
        .value_kind:     by_value
      - .address_space:  global
        .offset:         136
        .size:           8
        .value_kind:     global_buffer
      - .address_space:  global
        .offset:         144
        .size:           8
        .value_kind:     global_buffer
      - .address_space:  global
        .offset:         152
        .size:           8
        .value_kind:     global_buffer
      - .offset:         160
        .size:           8
        .value_kind:     by_value
      - .offset:         168
        .size:           8
        .value_kind:     by_value
    .group_segment_fixed_size: 8
    .kernarg_segment_align: 8
    .kernarg_segment_size: 176
    .language:       OpenCL C
    .language_version:
      - 2
      - 0
    .max_flat_workgroup_size: 256
    .name:           _ZN9rocsolver6v33100L12stein_kernelIddPdEEviPT0_lS4_lPiS4_lS5_lS5_lT1_iilS5_lS5_S4_S5_S3_S3_
    .private_segment_fixed_size: 0
    .sgpr_count:     107
    .sgpr_spill_count: 14
    .symbol:         _ZN9rocsolver6v33100L12stein_kernelIddPdEEviPT0_lS4_lPiS4_lS5_lS5_lT1_iilS5_lS5_S4_S5_S3_S3_.kd
    .uniform_work_group_size: 1
    .uses_dynamic_stack: false
    .vgpr_count:     63
    .vgpr_spill_count: 0
    .wavefront_size: 32
  - .args:
      - .offset:         0
        .size:           4
        .value_kind:     by_value
      - .address_space:  global
        .offset:         8
        .size:           8
        .value_kind:     global_buffer
      - .address_space:  global
        .offset:         16
        .size:           8
        .value_kind:     global_buffer
      - .offset:         24
        .size:           8
        .value_kind:     by_value
      - .address_space:  global
        .offset:         32
        .size:           8
        .value_kind:     global_buffer
      - .offset:         40
        .size:           4
        .value_kind:     by_value
      - .offset:         44
        .size:           4
        .value_kind:     by_value
      - .offset:         48
        .size:           8
        .value_kind:     by_value
      - .address_space:  global
        .offset:         56
        .size:           8
        .value_kind:     global_buffer
      - .offset:         64
        .size:           8
        .value_kind:     by_value
      - .address_space:  global
        .offset:         72
        .size:           8
        .value_kind:     global_buffer
      - .address_space:  global
        .offset:         80
        .size:           8
        .value_kind:     global_buffer
      - .offset:         88
        .size:           4
        .value_kind:     hidden_block_count_x
      - .offset:         92
        .size:           4
        .value_kind:     hidden_block_count_y
      - .offset:         96
        .size:           4
        .value_kind:     hidden_block_count_z
      - .offset:         100
        .size:           2
        .value_kind:     hidden_group_size_x
      - .offset:         102
        .size:           2
        .value_kind:     hidden_group_size_y
      - .offset:         104
        .size:           2
        .value_kind:     hidden_group_size_z
      - .offset:         106
        .size:           2
        .value_kind:     hidden_remainder_x
      - .offset:         108
        .size:           2
        .value_kind:     hidden_remainder_y
      - .offset:         110
        .size:           2
        .value_kind:     hidden_remainder_z
      - .offset:         128
        .size:           8
        .value_kind:     hidden_global_offset_x
      - .offset:         136
        .size:           8
        .value_kind:     hidden_global_offset_y
      - .offset:         144
        .size:           8
        .value_kind:     hidden_global_offset_z
      - .offset:         152
        .size:           2
        .value_kind:     hidden_grid_dims
      - .offset:         168
        .size:           8
        .value_kind:     hidden_hostcall_buffer
    .group_segment_fixed_size: 0
    .kernarg_segment_align: 8
    .kernarg_segment_size: 344
    .language:       OpenCL C
    .language_version:
      - 2
      - 0
    .max_flat_workgroup_size: 256
    .name:           _ZN9rocsolver6v33100L15syevx_sort_eigsIddPdEEviPiPT0_lT1_iilS3_lS3_S3_
    .private_segment_fixed_size: 64
    .sgpr_count:     47
    .sgpr_spill_count: 0
    .symbol:         _ZN9rocsolver6v33100L15syevx_sort_eigsIddPdEEviPiPT0_lT1_iilS3_lS3_S3_.kd
    .uniform_work_group_size: 1
    .uses_dynamic_stack: false
    .vgpr_count:     55
    .vgpr_spill_count: 0
    .wavefront_size: 32
  - .args:
      - .offset:         0
        .size:           4
        .value_kind:     by_value
      - .offset:         4
        .size:           4
        .value_kind:     by_value
      - .address_space:  global
        .offset:         8
        .size:           8
        .value_kind:     global_buffer
      - .address_space:  global
        .offset:         16
        .size:           8
        .value_kind:     global_buffer
      - .offset:         24
        .size:           8
        .value_kind:     by_value
      - .address_space:  global
        .offset:         32
        .size:           8
        .value_kind:     global_buffer
      - .offset:         40
        .size:           4
        .value_kind:     by_value
      - .offset:         44
        .size:           4
        .value_kind:     by_value
      - .offset:         48
        .size:           8
        .value_kind:     by_value
      - .address_space:  global
        .offset:         56
        .size:           8
        .value_kind:     global_buffer
      - .offset:         64
        .size:           4
        .value_kind:     hidden_block_count_x
      - .offset:         68
        .size:           4
        .value_kind:     hidden_block_count_y
      - .offset:         72
        .size:           4
        .value_kind:     hidden_block_count_z
      - .offset:         76
        .size:           2
        .value_kind:     hidden_group_size_x
      - .offset:         78
        .size:           2
        .value_kind:     hidden_group_size_y
      - .offset:         80
        .size:           2
        .value_kind:     hidden_group_size_z
      - .offset:         82
        .size:           2
        .value_kind:     hidden_remainder_x
      - .offset:         84
        .size:           2
        .value_kind:     hidden_remainder_y
      - .offset:         86
        .size:           2
        .value_kind:     hidden_remainder_z
      - .offset:         104
        .size:           8
        .value_kind:     hidden_global_offset_x
      - .offset:         112
        .size:           8
        .value_kind:     hidden_global_offset_y
      - .offset:         120
        .size:           8
        .value_kind:     hidden_global_offset_z
      - .offset:         128
        .size:           2
        .value_kind:     hidden_grid_dims
    .group_segment_fixed_size: 0
    .kernarg_segment_align: 8
    .kernarg_segment_size: 320
    .language:       OpenCL C
    .language_version:
      - 2
      - 0
    .max_flat_workgroup_size: 1024
    .name:           _ZN9rocsolver6v33100L19bdsvdx_reorder_vectIdPdEEv13rocblas_fill_iPiPT_lT0_iilS6_
    .private_segment_fixed_size: 0
    .sgpr_count:     22
    .sgpr_spill_count: 0
    .symbol:         _ZN9rocsolver6v33100L19bdsvdx_reorder_vectIdPdEEv13rocblas_fill_iPiPT_lT0_iilS6_.kd
    .uniform_work_group_size: 1
    .uses_dynamic_stack: false
    .vgpr_count:     7
    .vgpr_spill_count: 0
    .wavefront_size: 32
amdhsa.target:   amdgcn-amd-amdhsa--gfx1250
amdhsa.version:
  - 1
  - 2
...

	.end_amdgpu_metadata
